;; amdgpu-corpus repo=ROCm/rocFFT kind=compiled arch=gfx906 opt=O3
	.text
	.amdgcn_target "amdgcn-amd-amdhsa--gfx906"
	.amdhsa_code_object_version 6
	.protected	fft_rtc_back_len168_factors_3_7_8_wgs_192_tpt_8_dim2_sp_ip_CI_sbcc_twdbase8_2step_dirReg ; -- Begin function fft_rtc_back_len168_factors_3_7_8_wgs_192_tpt_8_dim2_sp_ip_CI_sbcc_twdbase8_2step_dirReg
	.globl	fft_rtc_back_len168_factors_3_7_8_wgs_192_tpt_8_dim2_sp_ip_CI_sbcc_twdbase8_2step_dirReg
	.p2align	8
	.type	fft_rtc_back_len168_factors_3_7_8_wgs_192_tpt_8_dim2_sp_ip_CI_sbcc_twdbase8_2step_dirReg,@function
fft_rtc_back_len168_factors_3_7_8_wgs_192_tpt_8_dim2_sp_ip_CI_sbcc_twdbase8_2step_dirReg: ; @fft_rtc_back_len168_factors_3_7_8_wgs_192_tpt_8_dim2_sp_ip_CI_sbcc_twdbase8_2step_dirReg
; %bb.0:
	s_load_dwordx4 s[0:3], s[4:5], 0x10
	s_mov_b32 s7, 0
	s_mov_b64 s[20:21], -1
	s_waitcnt lgkmcnt(0)
	s_load_dwordx2 s[16:17], s[0:1], 0x8
	s_load_dwordx2 s[14:15], s[4:5], 0x50
	;; [unrolled: 1-line block ×3, first 2 shown]
	s_waitcnt lgkmcnt(0)
	s_add_u32 s0, s16, -1
	s_addc_u32 s1, s17, -1
	s_add_u32 s8, 0, 0xaaaa0000
	s_addc_u32 s9, 0, 42
	s_add_i32 s9, s9, 0xaaaaa80
	s_mul_hi_u32 s19, s8, 0xffffffe8
	s_sub_i32 s19, s19, s8
	s_mul_i32 s22, s9, 0xffffffe8
	s_mul_i32 s10, s8, 0xffffffe8
	s_add_i32 s19, s19, s22
	s_mul_hi_u32 s11, s9, s10
	s_mul_i32 s18, s9, s10
	s_mul_i32 s23, s8, s19
	s_mul_hi_u32 s10, s8, s10
	s_mul_hi_u32 s22, s8, s19
	s_add_u32 s10, s10, s23
	s_addc_u32 s22, 0, s22
	s_add_u32 s10, s10, s18
	s_mul_hi_u32 s23, s9, s19
	s_addc_u32 s10, s22, s11
	s_addc_u32 s11, s23, 0
	s_mul_i32 s18, s9, s19
	s_add_u32 s10, s10, s18
	v_mov_b32_e32 v1, s10
	s_addc_u32 s11, 0, s11
	v_add_co_u32_e32 v1, vcc, s8, v1
	s_cmp_lg_u64 vcc, 0
	s_addc_u32 s8, s9, s11
	v_readfirstlane_b32 s11, v1
	s_mul_i32 s10, s0, s8
	s_mul_hi_u32 s18, s0, s11
	s_mul_hi_u32 s9, s0, s8
	s_add_u32 s10, s18, s10
	s_addc_u32 s9, 0, s9
	s_mul_hi_u32 s19, s1, s11
	s_mul_i32 s11, s1, s11
	s_add_u32 s10, s10, s11
	s_mul_hi_u32 s18, s1, s8
	s_addc_u32 s9, s9, s19
	s_addc_u32 s10, s18, 0
	s_mul_i32 s8, s1, s8
	s_add_u32 s8, s9, s8
	s_addc_u32 s9, 0, s10
	s_add_u32 s10, s8, 1
	s_addc_u32 s11, s9, 0
	s_add_u32 s18, s8, 2
	s_mul_i32 s22, s9, 24
	s_mul_hi_u32 s23, s8, 24
	s_addc_u32 s19, s9, 0
	s_add_i32 s23, s23, s22
	s_mul_i32 s22, s8, 24
	v_mov_b32_e32 v1, s22
	v_sub_co_u32_e32 v1, vcc, s0, v1
	s_cmp_lg_u64 vcc, 0
	s_subb_u32 s0, s1, s23
	v_subrev_co_u32_e32 v2, vcc, 24, v1
	s_cmp_lg_u64 vcc, 0
	s_subb_u32 s1, s0, 0
	v_readfirstlane_b32 s22, v2
	s_cmp_gt_u32 s22, 23
	s_cselect_b32 s22, -1, 0
	s_cmp_eq_u32 s1, 0
	s_cselect_b32 s1, s22, -1
	s_cmp_lg_u32 s1, 0
	s_cselect_b32 s1, s18, s10
	s_cselect_b32 s10, s19, s11
	v_readfirstlane_b32 s11, v1
	s_cmp_gt_u32 s11, 23
	s_cselect_b32 s11, -1, 0
	s_cmp_eq_u32 s0, 0
	s_cselect_b32 s0, s11, -1
	s_cmp_lg_u32 s0, 0
	s_cselect_b32 s0, s1, s8
	s_cselect_b32 s9, s10, s9
	s_add_u32 s0, s0, 1
	s_addc_u32 s1, s9, 0
	v_mov_b32_e32 v2, s1
	v_mov_b32_e32 v1, s0
	v_cmp_lt_u64_e32 vcc, s[6:7], v[1:2]
	s_mov_b64 s[22:23], 0
	s_cbranch_vccnz .LBB0_2
; %bb.1:
	v_cvt_f32_u32_e32 v1, s0
	s_sub_i32 s7, 0, s0
	v_rcp_iflag_f32_e32 v1, v1
	v_mul_f32_e32 v1, 0x4f7ffffe, v1
	v_cvt_u32_f32_e32 v1, v1
	v_readfirstlane_b32 s8, v1
	s_mul_i32 s7, s7, s8
	s_mul_hi_u32 s7, s8, s7
	s_add_i32 s8, s8, s7
	s_mul_hi_u32 s7, s6, s8
	s_mul_i32 s9, s7, s0
	s_sub_i32 s9, s6, s9
	s_add_i32 s8, s7, 1
	s_sub_i32 s10, s9, s0
	s_cmp_ge_u32 s9, s0
	s_cselect_b32 s7, s8, s7
	s_cselect_b32 s9, s10, s9
	s_add_i32 s8, s7, 1
	s_cmp_ge_u32 s9, s0
	s_cselect_b32 s22, s8, s7
.LBB0_2:
	s_mul_i32 s1, s22, s1
	s_mul_hi_u32 s7, s22, s0
	s_load_dwordx4 s[8:11], s[2:3], 0x8
	s_add_i32 s7, s7, s1
	s_mul_i32 s0, s22, s0
	s_sub_u32 s0, s6, s0
	s_subb_u32 s1, 0, s7
	s_mul_i32 s1, s1, 24
	s_mul_hi_u32 s2, s0, 24
	s_mul_i32 s0, s0, 24
	s_add_i32 s1, s2, s1
	s_waitcnt lgkmcnt(0)
	s_mul_i32 s3, s0, s9
	s_mul_hi_u32 s6, s0, s8
	v_mul_u32_u24_e32 v1, 0xaab, v0
	s_mul_i32 s2, s1, s8
	s_add_i32 s3, s6, s3
	s_mul_i32 s6, s11, s22
	s_mul_hi_u32 s7, s10, s22
	v_lshrrev_b32_e32 v99, 16, v1
	s_add_i32 s3, s3, s2
	s_mul_i32 s2, s0, s8
	s_add_i32 s7, s7, s6
	s_mul_i32 s6, s10, s22
	v_mul_lo_u16_e32 v1, 24, v99
	s_add_u32 s6, s6, s2
	v_sub_u16_e32 v101, v0, v1
	s_addc_u32 s7, s7, s3
	v_mov_b32_e32 v1, s1
	v_add_co_u32_e32 v29, vcc, s0, v101
	s_load_dwordx2 s[18:19], s[4:5], 0x0
	v_addc_co_u32_e32 v30, vcc, 0, v1, vcc
	s_add_u32 s0, s0, 24
	v_mov_b32_e32 v1, s16
	s_addc_u32 s1, s1, 0
	v_mov_b32_e32 v2, s17
	v_cmp_gt_u64_e32 vcc, s[0:1], v[1:2]
	v_cmp_le_u64_e64 s[0:1], s[0:1], v[1:2]
	s_and_b64 vcc, exec, vcc
	v_add_u32_e32 v45, 8, v99
	v_or_b32_e32 v100, 16, v99
	v_add_u32_e32 v46, 24, v99
	v_or_b32_e32 v47, 48, v99
	s_cbranch_vccnz .LBB0_4
; %bb.3:
	v_mad_u64_u32 v[1:2], s[2:3], s8, v101, 0
	v_mad_u64_u32 v[3:4], s[2:3], s12, v99, 0
	v_add_u32_e32 v8, 56, v99
	v_add_u32_e32 v102, 8, v99
	v_mad_u64_u32 v[5:6], s[2:3], s9, v101, v[2:3]
	v_mov_b32_e32 v2, v4
	v_mad_u64_u32 v[6:7], s[2:3], s13, v99, v[2:3]
	s_lshl_b64 s[2:3], s[6:7], 3
	s_add_u32 s10, s14, s2
	s_addc_u32 s2, s15, s3
	v_mov_b32_e32 v2, v5
	v_mov_b32_e32 v4, v6
	v_mov_b32_e32 v7, s2
	v_mad_u64_u32 v[5:6], s[2:3], s12, v8, 0
	v_lshlrev_b64 v[1:2], 3, v[1:2]
	v_or_b32_e32 v51, 16, v99
	v_add_co_u32_e32 v9, vcc, s10, v1
	v_addc_co_u32_e32 v10, vcc, v7, v2, vcc
	v_lshlrev_b64 v[1:2], 3, v[3:4]
	v_mov_b32_e32 v3, v6
	v_mad_u64_u32 v[3:4], s[2:3], s13, v8, v[3:4]
	v_or_b32_e32 v4, 0x70, v99
	v_mad_u64_u32 v[7:8], s[2:3], s12, v4, 0
	v_mov_b32_e32 v6, v3
	v_add_co_u32_e32 v13, vcc, v9, v1
	v_mov_b32_e32 v3, v8
	v_mad_u64_u32 v[3:4], s[2:3], s13, v4, v[3:4]
	v_addc_co_u32_e32 v14, vcc, v10, v2, vcc
	v_lshlrev_b64 v[1:2], 3, v[5:6]
	v_mad_u64_u32 v[4:5], s[2:3], s12, v102, 0
	v_add_co_u32_e32 v23, vcc, v9, v1
	v_mov_b32_e32 v8, v3
	v_mov_b32_e32 v3, v5
	v_addc_co_u32_e32 v24, vcc, v10, v2, vcc
	v_lshlrev_b64 v[1:2], 3, v[7:8]
	v_mad_u64_u32 v[5:6], s[2:3], s13, v102, v[3:4]
	v_or_b32_e32 v8, 64, v99
	v_mad_u64_u32 v[6:7], s[2:3], s12, v8, 0
	v_add_co_u32_e32 v37, vcc, v9, v1
	v_mov_b32_e32 v3, v7
	v_addc_co_u32_e32 v38, vcc, v10, v2, vcc
	v_lshlrev_b64 v[1:2], 3, v[4:5]
	v_mad_u64_u32 v[3:4], s[2:3], s13, v8, v[3:4]
	v_add_u32_e32 v8, 0x78, v99
	v_mad_u64_u32 v[4:5], s[2:3], s12, v8, 0
	v_add_co_u32_e32 v39, vcc, v9, v1
	v_mov_b32_e32 v7, v3
	v_mov_b32_e32 v3, v5
	v_addc_co_u32_e32 v40, vcc, v10, v2, vcc
	v_lshlrev_b64 v[1:2], 3, v[6:7]
	v_mad_u64_u32 v[5:6], s[2:3], s13, v8, v[3:4]
	v_mad_u64_u32 v[6:7], s[2:3], s12, v51, 0
	v_add_co_u32_e32 v41, vcc, v9, v1
	v_mov_b32_e32 v3, v7
	v_addc_co_u32_e32 v42, vcc, v10, v2, vcc
	v_lshlrev_b64 v[1:2], 3, v[4:5]
	v_mad_u64_u32 v[3:4], s[2:3], s13, v51, v[3:4]
	v_add_u32_e32 v8, 0x48, v99
	v_mad_u64_u32 v[4:5], s[2:3], s12, v8, 0
	v_add_co_u32_e32 v43, vcc, v9, v1
	v_mov_b32_e32 v7, v3
	v_mov_b32_e32 v3, v5
	v_addc_co_u32_e32 v44, vcc, v10, v2, vcc
	v_lshlrev_b64 v[1:2], 3, v[6:7]
	v_mad_u64_u32 v[5:6], s[2:3], s13, v8, v[3:4]
	v_or_b32_e32 v8, 0x80, v99
	v_mad_u64_u32 v[6:7], s[2:3], s12, v8, 0
	v_add_co_u32_e32 v52, vcc, v9, v1
	v_mov_b32_e32 v3, v7
	v_addc_co_u32_e32 v53, vcc, v10, v2, vcc
	v_lshlrev_b64 v[1:2], 3, v[4:5]
	v_mad_u64_u32 v[3:4], s[2:3], s13, v8, v[3:4]
	v_add_u32_e32 v48, 24, v99
	v_mad_u64_u32 v[4:5], s[2:3], s12, v48, 0
	v_add_co_u32_e32 v54, vcc, v9, v1
	v_mov_b32_e32 v7, v3
	v_mov_b32_e32 v3, v5
	v_addc_co_u32_e32 v55, vcc, v10, v2, vcc
	v_lshlrev_b64 v[1:2], 3, v[6:7]
	v_mad_u64_u32 v[5:6], s[2:3], s13, v48, v[3:4]
	v_or_b32_e32 v8, 0x50, v99
	;; [unrolled: 15-line block ×7, first 2 shown]
	v_mad_u64_u32 v[6:7], s[2:3], s12, v8, 0
	v_add_co_u32_e32 v76, vcc, v9, v1
	v_mov_b32_e32 v3, v7
	v_addc_co_u32_e32 v77, vcc, v10, v2, vcc
	v_lshlrev_b64 v[1:2], 3, v[4:5]
	v_mad_u64_u32 v[3:4], s[2:3], s13, v8, v[3:4]
	v_add_co_u32_e32 v78, vcc, v9, v1
	v_mov_b32_e32 v7, v3
	v_addc_co_u32_e32 v79, vcc, v10, v2, vcc
	v_lshlrev_b64 v[1:2], 3, v[6:7]
	v_add_co_u32_e32 v80, vcc, v9, v1
	v_addc_co_u32_e32 v81, vcc, v10, v2, vcc
	global_load_dwordx2 v[3:4], v[13:14], off
	global_load_dwordx2 v[9:10], v[23:24], off
	;; [unrolled: 1-line block ×15, first 2 shown]
                                        ; kill: killed $vgpr54 killed $vgpr55
                                        ; kill: killed $vgpr39 killed $vgpr40
                                        ; kill: killed $vgpr66 killed $vgpr67
                                        ; kill: killed $vgpr43 killed $vgpr44
                                        ; kill: killed $vgpr23 killed $vgpr24
                                        ; kill: killed $vgpr60 killed $vgpr61
                                        ; kill: killed $vgpr52 killed $vgpr53
                                        ; kill: killed $vgpr64 killed $vgpr65
                                        ; kill: killed $vgpr56 killed $vgpr57
                                        ; kill: killed $vgpr41 killed $vgpr42
                                        ; kill: killed $vgpr13 killed $vgpr14
                                        ; kill: killed $vgpr68 killed $vgpr69
                                        ; kill: killed $vgpr58 killed $vgpr59
                                        ; kill: killed $vgpr37 killed $vgpr38
                                        ; kill: killed $vgpr62 killed $vgpr63
	global_load_dwordx2 v[13:14], v[70:71], off
	global_load_dwordx2 v[43:44], v[72:73], off
	;; [unrolled: 1-line block ×6, first 2 shown]
	s_cbranch_execz .LBB0_5
	s_branch .LBB0_10
.LBB0_4:
                                        ; implicit-def: $vgpr39
                                        ; implicit-def: $vgpr37
                                        ; implicit-def: $vgpr23
                                        ; implicit-def: $vgpr41
                                        ; implicit-def: $vgpr43
                                        ; implicit-def: $vgpr13
                                        ; implicit-def: $vgpr33
                                        ; implicit-def: $vgpr35
                                        ; implicit-def: $vgpr102
                                        ; implicit-def: $vgpr51
                                        ; implicit-def: $vgpr48
                                        ; implicit-def: $vgpr49
                                        ; implicit-def: $vgpr17
                                        ; implicit-def: $vgpr27
                                        ; implicit-def: $vgpr25
                                        ; implicit-def: $vgpr7
                                        ; implicit-def: $vgpr31
                                        ; implicit-def: $vgpr15
                                        ; implicit-def: $vgpr5
                                        ; implicit-def: $vgpr21
                                        ; implicit-def: $vgpr19
                                        ; implicit-def: $vgpr1
                                        ; implicit-def: $vgpr11
                                        ; implicit-def: $vgpr9
                                        ; implicit-def: $vgpr3
	s_andn2_b64 vcc, exec, s[20:21]
	s_cbranch_vccnz .LBB0_10
.LBB0_5:
	v_cmp_le_u64_e32 vcc, s[16:17], v[29:30]
                                        ; implicit-def: $vgpr102
                                        ; implicit-def: $vgpr51
                                        ; implicit-def: $vgpr48
                                        ; implicit-def: $vgpr49
	s_and_saveexec_b64 s[2:3], vcc
	s_xor_b64 s[2:3], exec, s[2:3]
; %bb.6:
	v_add_u32_e32 v102, 8, v99
	v_or_b32_e32 v51, 16, v99
	v_add_u32_e32 v48, 24, v99
	v_or_b32_e32 v49, 48, v99
                                        ; implicit-def: $vgpr45
                                        ; implicit-def: $vgpr46
                                        ; implicit-def: $vgpr47
; %bb.7:
	s_or_saveexec_b64 s[2:3], s[2:3]
                                        ; implicit-def: $vgpr39
                                        ; implicit-def: $vgpr37
                                        ; implicit-def: $vgpr23
                                        ; implicit-def: $vgpr41
                                        ; implicit-def: $vgpr43
                                        ; implicit-def: $vgpr13
                                        ; implicit-def: $vgpr33
                                        ; implicit-def: $vgpr35
                                        ; implicit-def: $vgpr17
                                        ; implicit-def: $vgpr27
                                        ; implicit-def: $vgpr25
                                        ; implicit-def: $vgpr7
                                        ; implicit-def: $vgpr31
                                        ; implicit-def: $vgpr15
                                        ; implicit-def: $vgpr5
                                        ; implicit-def: $vgpr21
                                        ; implicit-def: $vgpr19
                                        ; implicit-def: $vgpr1
                                        ; implicit-def: $vgpr11
                                        ; implicit-def: $vgpr9
                                        ; implicit-def: $vgpr3
	s_xor_b64 exec, exec, s[2:3]
	s_cbranch_execz .LBB0_9
; %bb.8:
	s_waitcnt vmcnt(17)
	v_mad_u64_u32 v[1:2], s[10:11], s8, v101, 0
	v_mad_u64_u32 v[3:4], s[10:11], s12, v99, 0
	s_waitcnt vmcnt(11)
	v_add_u32_e32 v8, 56, v99
	s_waitcnt vmcnt(2)
	v_add_u32_e32 v23, 0x78, v99
	v_mad_u64_u32 v[5:6], s[10:11], s9, v101, v[2:3]
	v_mov_b32_e32 v2, v4
	v_mad_u64_u32 v[6:7], s[10:11], s13, v99, v[2:3]
	s_lshl_b64 s[10:11], s[6:7], 3
	s_add_u32 s20, s14, s10
	s_addc_u32 s10, s15, s11
	v_mov_b32_e32 v2, v5
	v_mov_b32_e32 v4, v6
	;; [unrolled: 1-line block ×3, first 2 shown]
	v_mad_u64_u32 v[5:6], s[10:11], s12, v8, 0
	v_lshlrev_b64 v[1:2], 3, v[1:2]
	v_mad_u64_u32 v[21:22], s[10:11], s12, v23, 0
	v_add_co_u32_e32 v56, vcc, s20, v1
	v_addc_co_u32_e32 v57, vcc, v7, v2, vcc
	v_lshlrev_b64 v[1:2], 3, v[3:4]
	v_mov_b32_e32 v3, v6
	v_mad_u64_u32 v[3:4], s[10:11], s13, v8, v[3:4]
	v_or_b32_e32 v4, 0x70, v99
	v_mad_u64_u32 v[7:8], s[10:11], s12, v4, 0
	v_mov_b32_e32 v6, v3
	v_add_co_u32_e32 v13, vcc, v56, v1
	v_mov_b32_e32 v3, v8
	v_mad_u64_u32 v[3:4], s[10:11], s13, v4, v[3:4]
	v_addc_co_u32_e32 v14, vcc, v57, v2, vcc
	v_lshlrev_b64 v[1:2], 3, v[5:6]
	v_mad_u64_u32 v[4:5], s[10:11], s12, v45, 0
	v_mov_b32_e32 v8, v3
	v_add_co_u32_e32 v15, vcc, v56, v1
	v_mov_b32_e32 v3, v5
	v_mad_u64_u32 v[5:6], s[10:11], s13, v45, v[3:4]
	v_addc_co_u32_e32 v16, vcc, v57, v2, vcc
	v_lshlrev_b64 v[1:2], 3, v[7:8]
	v_or_b32_e32 v3, 64, v99
	v_mad_u64_u32 v[17:18], s[10:11], s12, v3, 0
	v_add_co_u32_e32 v6, vcc, v56, v1
	v_addc_co_u32_e32 v7, vcc, v57, v2, vcc
	v_lshlrev_b64 v[1:2], 3, v[4:5]
	v_mad_u64_u32 v[31:32], s[10:11], s12, v46, 0
	v_add_co_u32_e32 v19, vcc, v56, v1
	v_mov_b32_e32 v1, v18
	v_mad_u64_u32 v[8:9], s[10:11], s13, v3, v[1:2]
	v_addc_co_u32_e32 v20, vcc, v57, v2, vcc
	global_load_dwordx2 v[3:4], v[13:14], off
	global_load_dwordx2 v[9:10], v[15:16], off
	;; [unrolled: 1-line block ×4, first 2 shown]
	v_mov_b32_e32 v7, v22
	v_mov_b32_e32 v18, v8
	v_mad_u64_u32 v[7:8], s[10:11], s13, v23, v[7:8]
	v_mad_u64_u32 v[13:14], s[10:11], s12, v100, 0
	v_mov_b32_e32 v22, v7
	v_lshlrev_b64 v[5:6], 3, v[17:18]
	v_mov_b32_e32 v7, v14
	v_mad_u64_u32 v[7:8], s[10:11], s13, v100, v[7:8]
	v_add_u32_e32 v8, 0x48, v99
	v_mad_u64_u32 v[15:16], s[10:11], s12, v8, 0
	v_add_co_u32_e32 v17, vcc, v56, v5
	v_addc_co_u32_e32 v18, vcc, v57, v6, vcc
	v_lshlrev_b64 v[5:6], 3, v[21:22]
	v_mov_b32_e32 v14, v7
	v_mov_b32_e32 v7, v16
	v_mad_u64_u32 v[7:8], s[10:11], s13, v8, v[7:8]
	v_add_co_u32_e32 v23, vcc, v56, v5
	v_addc_co_u32_e32 v24, vcc, v57, v6, vcc
	v_lshlrev_b64 v[5:6], 3, v[13:14]
	v_mov_b32_e32 v16, v7
	v_add_co_u32_e32 v13, vcc, v56, v5
	v_addc_co_u32_e32 v14, vcc, v57, v6, vcc
	v_lshlrev_b64 v[5:6], 3, v[15:16]
	v_or_b32_e32 v15, 0x80, v99
	v_mad_u64_u32 v[7:8], s[10:11], s12, v15, 0
	v_add_co_u32_e32 v25, vcc, v56, v5
	v_mov_b32_e32 v5, v8
	v_addc_co_u32_e32 v26, vcc, v57, v6, vcc
	v_mad_u64_u32 v[27:28], s[10:11], s13, v15, v[5:6]
	global_load_dwordx2 v[19:20], v[17:18], off
	global_load_dwordx2 v[21:22], v[23:24], off
	;; [unrolled: 1-line block ×4, first 2 shown]
	v_mov_b32_e32 v13, v32
	v_mad_u64_u32 v[13:14], s[10:11], s13, v46, v[13:14]
	v_or_b32_e32 v14, 0x50, v99
	v_mad_u64_u32 v[17:18], s[10:11], s12, v14, 0
	v_mov_b32_e32 v32, v13
	v_mov_b32_e32 v8, v27
	;; [unrolled: 1-line block ×3, first 2 shown]
	v_mad_u64_u32 v[13:14], s[10:11], s13, v14, v[13:14]
	v_add_u32_e32 v14, 0x88, v99
	v_mad_u64_u32 v[25:26], s[10:11], s12, v14, 0
	v_lshlrev_b64 v[7:8], 3, v[7:8]
	v_mov_b32_e32 v18, v13
	v_add_co_u32_e32 v23, vcc, v56, v7
	v_addc_co_u32_e32 v24, vcc, v57, v8, vcc
	v_lshlrev_b64 v[7:8], 3, v[31:32]
	v_mov_b32_e32 v13, v26
	v_mad_u64_u32 v[13:14], s[10:11], s13, v14, v[13:14]
	v_add_co_u32_e32 v33, vcc, v56, v7
	v_addc_co_u32_e32 v34, vcc, v57, v8, vcc
	v_lshlrev_b64 v[7:8], 3, v[17:18]
	v_mov_b32_e32 v26, v13
	v_add_co_u32_e32 v17, vcc, v56, v7
	v_addc_co_u32_e32 v18, vcc, v57, v8, vcc
	v_lshlrev_b64 v[7:8], 3, v[25:26]
	v_or_b32_e32 v25, 32, v99
	v_mad_u64_u32 v[13:14], s[10:11], s12, v25, 0
	v_add_co_u32_e32 v35, vcc, v56, v7
	v_mov_b32_e32 v7, v14
	s_waitcnt vmcnt(9)
	v_mad_u64_u32 v[37:38], s[10:11], s13, v25, v[7:8]
	s_waitcnt vmcnt(8)
	v_add_u32_e32 v40, 0x58, v99
	v_mad_u64_u32 v[38:39], s[10:11], s12, v40, 0
	v_addc_co_u32_e32 v36, vcc, v57, v8, vcc
	global_load_dwordx2 v[31:32], v[23:24], off
	global_load_dwordx2 v[7:8], v[33:34], off
	global_load_dwordx2 v[25:26], v[17:18], off
	global_load_dwordx2 v[27:28], v[35:36], off
	v_mov_b32_e32 v17, v39
	v_mad_u64_u32 v[17:18], s[10:11], s13, v40, v[17:18]
	v_or_b32_e32 v18, 0x90, v99
	v_mad_u64_u32 v[23:24], s[10:11], s12, v18, 0
	v_mov_b32_e32 v39, v17
	v_mov_b32_e32 v14, v37
	;; [unrolled: 1-line block ×3, first 2 shown]
	v_mad_u64_u32 v[17:18], s[10:11], s13, v18, v[17:18]
	v_add_u32_e32 v18, 40, v99
	v_mad_u64_u32 v[33:34], s[10:11], s12, v18, 0
	v_lshlrev_b64 v[13:14], 3, v[13:14]
	v_mov_b32_e32 v24, v17
	v_mov_b32_e32 v17, v34
	v_add_co_u32_e32 v40, vcc, v56, v13
	v_mad_u64_u32 v[17:18], s[10:11], s13, v18, v[17:18]
	v_addc_co_u32_e32 v41, vcc, v57, v14, vcc
	v_lshlrev_b64 v[13:14], 3, v[38:39]
	v_mov_b32_e32 v34, v17
	v_add_co_u32_e32 v37, vcc, v56, v13
	v_addc_co_u32_e32 v38, vcc, v57, v14, vcc
	v_lshlrev_b64 v[13:14], 3, v[23:24]
	v_or_b32_e32 v17, 0x60, v99
	v_mad_u64_u32 v[42:43], s[10:11], s12, v17, 0
	v_add_u32_e32 v39, 0x98, v99
	v_add_co_u32_e32 v23, vcc, v56, v13
	v_mad_u64_u32 v[50:51], s[10:11], s12, v39, 0
	v_addc_co_u32_e32 v24, vcc, v57, v14, vcc
	v_lshlrev_b64 v[13:14], 3, v[33:34]
	v_mov_b32_e32 v102, v45
	v_add_co_u32_e32 v48, vcc, v56, v13
	v_mov_b32_e32 v13, v43
	v_addc_co_u32_e32 v49, vcc, v57, v14, vcc
	v_mad_u64_u32 v[43:44], s[10:11], s13, v17, v[13:14]
	global_load_dwordx2 v[17:18], v[40:41], off
	global_load_dwordx2 v[35:36], v[37:38], off
	global_load_dwordx2 v[33:34], v[23:24], off
	global_load_dwordx2 v[13:14], v[48:49], off
	v_mov_b32_e32 v37, v51
	v_mad_u64_u32 v[37:38], s[10:11], s13, v39, v[37:38]
	v_mad_u64_u32 v[38:39], s[10:11], s12, v47, 0
	v_mov_b32_e32 v51, v37
	v_lshlrev_b64 v[23:24], 3, v[42:43]
	v_mov_b32_e32 v37, v39
	v_mad_u64_u32 v[39:40], s[10:11], s13, v47, v[37:38]
	v_add_u32_e32 v42, 0x68, v99
	v_mad_u64_u32 v[40:41], s[10:11], s12, v42, 0
	v_add_co_u32_e32 v48, vcc, v56, v23
	v_addc_co_u32_e32 v49, vcc, v57, v24, vcc
	v_lshlrev_b64 v[23:24], 3, v[50:51]
	v_mov_b32_e32 v37, v41
	v_add_co_u32_e32 v50, vcc, v56, v23
	v_addc_co_u32_e32 v51, vcc, v57, v24, vcc
	v_lshlrev_b64 v[23:24], 3, v[38:39]
	v_mad_u64_u32 v[37:38], s[10:11], s13, v42, v[37:38]
	v_add_co_u32_e32 v52, vcc, v56, v23
	v_mov_b32_e32 v41, v37
	v_or_b32_e32 v37, 0xa0, v99
	v_addc_co_u32_e32 v53, vcc, v57, v24, vcc
	v_lshlrev_b64 v[23:24], 3, v[40:41]
	v_mad_u64_u32 v[39:40], s[10:11], s12, v37, 0
	v_add_co_u32_e32 v54, vcc, v56, v23
	v_mov_b32_e32 v23, v40
	v_mad_u64_u32 v[40:41], s[10:11], s13, v37, v[23:24]
	v_addc_co_u32_e32 v55, vcc, v57, v24, vcc
	v_lshlrev_b64 v[39:40], 3, v[39:40]
	global_load_dwordx2 v[43:44], v[48:49], off
	global_load_dwordx2 v[41:42], v[50:51], off
	;; [unrolled: 1-line block ×4, first 2 shown]
	v_add_co_u32_e32 v39, vcc, v56, v39
	v_addc_co_u32_e32 v40, vcc, v57, v40, vcc
	global_load_dwordx2 v[39:40], v[39:40], off
	v_mov_b32_e32 v51, v100
	v_mov_b32_e32 v48, v46
	;; [unrolled: 1-line block ×3, first 2 shown]
.LBB0_9:
	s_or_b64 exec, exec, s[2:3]
.LBB0_10:
	s_waitcnt vmcnt(18)
	v_add_f32_e32 v46, v9, v11
	v_add_f32_e32 v45, v3, v9
	v_fmac_f32_e32 v3, -0.5, v46
	v_sub_f32_e32 v46, v10, v12
	v_mov_b32_e32 v52, v3
	v_fmac_f32_e32 v52, 0xbf5db3d7, v46
	v_fmac_f32_e32 v3, 0x3f5db3d7, v46
	v_add_f32_e32 v46, v4, v10
	v_add_f32_e32 v10, v10, v12
	v_fmac_f32_e32 v4, -0.5, v10
	v_sub_f32_e32 v9, v9, v11
	v_mov_b32_e32 v53, v4
	v_fmac_f32_e32 v53, 0x3f5db3d7, v9
	v_fmac_f32_e32 v4, 0xbf5db3d7, v9
	s_waitcnt vmcnt(16)
	v_add_f32_e32 v9, v1, v19
	s_waitcnt vmcnt(15)
	v_add_f32_e32 v10, v9, v21
	v_add_f32_e32 v9, v19, v21
	v_fmac_f32_e32 v1, -0.5, v9
	v_sub_f32_e32 v9, v20, v22
	v_mov_b32_e32 v54, v1
	v_fmac_f32_e32 v54, 0xbf5db3d7, v9
	v_fmac_f32_e32 v1, 0x3f5db3d7, v9
	v_add_f32_e32 v9, v2, v20
	v_add_f32_e32 v45, v45, v11
	;; [unrolled: 1-line block ×4, first 2 shown]
	v_fmac_f32_e32 v2, -0.5, v9
	v_sub_f32_e32 v9, v19, v21
	v_mov_b32_e32 v55, v2
	v_fmac_f32_e32 v55, 0x3f5db3d7, v9
	v_fmac_f32_e32 v2, 0xbf5db3d7, v9
	s_waitcnt vmcnt(13)
	v_add_f32_e32 v9, v5, v15
	s_waitcnt vmcnt(12)
	v_add_f32_e32 v19, v9, v31
	v_add_f32_e32 v9, v15, v31
	v_fmac_f32_e32 v5, -0.5, v9
	v_sub_f32_e32 v9, v16, v32
	v_mov_b32_e32 v21, v5
	v_fmac_f32_e32 v21, 0xbf5db3d7, v9
	v_fmac_f32_e32 v5, 0x3f5db3d7, v9
	v_add_f32_e32 v9, v6, v16
	v_add_f32_e32 v20, v9, v32
	v_add_f32_e32 v9, v16, v32
	v_fmac_f32_e32 v6, -0.5, v9
	v_sub_f32_e32 v9, v15, v31
	v_mov_b32_e32 v22, v6
	v_fmac_f32_e32 v22, 0x3f5db3d7, v9
	v_fmac_f32_e32 v6, 0xbf5db3d7, v9
	s_waitcnt vmcnt(10)
	v_add_f32_e32 v9, v7, v25
	s_waitcnt vmcnt(9)
	v_add_f32_e32 v15, v9, v27
	v_add_f32_e32 v9, v25, v27
	v_fmac_f32_e32 v7, -0.5, v9
	v_sub_f32_e32 v9, v26, v28
	v_mov_b32_e32 v31, v7
	v_fmac_f32_e32 v31, 0xbf5db3d7, v9
	v_fmac_f32_e32 v7, 0x3f5db3d7, v9
	v_add_f32_e32 v9, v8, v26
	v_add_f32_e32 v16, v9, v28
	v_add_f32_e32 v9, v26, v28
	;; [unrolled: 18-line block ×5, first 2 shown]
	v_fmac_f32_e32 v24, -0.5, v9
	v_sub_f32_e32 v9, v37, v39
	v_mov_b32_e32 v44, v24
	v_add_f32_e32 v46, v46, v12
	v_fmac_f32_e32 v44, 0x3f5db3d7, v9
	v_fmac_f32_e32 v24, 0xbf5db3d7, v9
	v_mul_u32_u24_e32 v12, 0x240, v99
	v_lshlrev_b32_e32 v9, 3, v101
	v_add3_u32 v12, 0, v12, v9
	ds_write2_b64 v12, v[45:46], v[52:53] offset1:24
	ds_write_b64 v12, v[3:4] offset:384
	v_mul_i32_i24_e32 v3, 0x240, v102
	v_add3_u32 v3, 0, v3, v9
	ds_write2_b64 v3, v[10:11], v[54:55] offset1:24
	ds_write_b64 v3, v[1:2] offset:384
	v_mul_i32_i24_e32 v1, 0x240, v51
	;; [unrolled: 4-line block ×3, first 2 shown]
	v_add3_u32 v46, 0, v1, v9
	v_add_u32_e32 v1, 0x4800, v12
	ds_write2_b64 v46, v[15:16], v[31:32] offset1:24
	ds_write_b64 v46, v[7:8] offset:384
	ds_write2_b64 v1, v[25:26], v[27:28] offset1:24
	ds_write_b64 v12, v[17:18] offset:18816
	v_add_u32_e32 v1, 0x5800, v12
	ds_write2_b64 v1, v[33:34], v[35:36] offset0:64 offset1:88
	ds_write_b64 v12, v[13:14] offset:23424
	v_mul_i32_i24_e32 v1, 0x240, v49
	v_add3_u32 v7, 0, v1, v9
	v_mul_lo_u16_e32 v1, 0x56, v99
	v_lshrrev_b16_e32 v1, 8, v1
	v_mul_lo_u16_e32 v2, 3, v1
	v_sub_u16_e32 v2, v99, v2
	v_and_b32_e32 v2, 0xff, v2
	v_mul_u32_u24_e32 v3, 6, v2
	s_movk_i32 s2, 0xab
	v_lshlrev_b32_e32 v8, 3, v3
	v_mul_lo_u16_sdwa v3, v102, s2 dst_sel:DWORD dst_unused:UNUSED_PAD src0_sel:BYTE_0 src1_sel:DWORD
	ds_write2_b64 v7, v[41:42], v[43:44] offset1:24
	ds_write_b64 v7, v[23:24] offset:384
	s_waitcnt lgkmcnt(0)
	s_barrier
	global_load_dwordx4 v[10:13], v8, s[18:19]
	global_load_dwordx4 v[14:17], v8, s[18:19] offset:16
	v_lshrrev_b16_e32 v3, 9, v3
	v_mul_lo_u16_e32 v4, 3, v3
	v_sub_u16_e32 v4, v102, v4
	v_and_b32_e32 v4, 0xff, v4
	v_mul_u32_u24_e32 v5, 6, v4
	v_lshlrev_b32_e32 v26, 3, v5
	global_load_dwordx4 v[18:21], v26, s[18:19] offset:16
	v_mul_lo_u16_sdwa v5, v51, s2 dst_sel:DWORD dst_unused:UNUSED_PAD src0_sel:BYTE_0 src1_sel:DWORD
	v_lshrrev_b16_e32 v5, 9, v5
	v_mul_lo_u16_e32 v6, 3, v5
	v_sub_u16_e32 v6, v51, v6
	v_and_b32_e32 v6, 0xff, v6
	v_mul_u32_u24_e32 v22, 6, v6
	v_lshlrev_b32_e32 v27, 3, v22
	global_load_dwordx4 v[22:25], v27, s[18:19] offset:16
	global_load_dwordx4 v[31:34], v8, s[18:19] offset:32
	global_load_dwordx4 v[35:38], v27, s[18:19]
	global_load_dwordx4 v[39:42], v26, s[18:19]
	global_load_dwordx4 v[53:56], v26, s[18:19] offset:32
	global_load_dwordx4 v[57:60], v27, s[18:19] offset:32
	v_mul_u32_u24_e32 v8, 0xc0, v99
	s_movk_i32 s2, 0xfe80
	v_add3_u32 v45, 0, v8, v9
	v_mad_i32_i24 v26, v48, s2, v46
	v_mad_i32_i24 v7, v49, s2, v7
	ds_read2st64_b64 v[46:49], v45 offset0:24 offset1:27
	ds_read2st64_b64 v[61:64], v45 offset0:36 offset1:39
	ds_read_b64 v[7:8], v7
	ds_read_b64 v[26:27], v26
	ds_read2st64_b64 v[65:68], v45 offset0:42 offset1:45
	v_mul_i32_i24_e32 v28, 0xc0, v51
	v_add3_u32 v52, 0, v28, v9
	ds_read_b64 v[43:44], v52
	s_mov_b32 s3, 0x3f3bfb3b
	s_mov_b32 s10, 0xbf3bfb3b
	;; [unrolled: 1-line block ×4, first 2 shown]
	v_mad_u32_u24 v1, v1, 21, v2
	v_mul_u32_u24_e32 v1, 0xc0, v1
	v_add3_u32 v1, 0, v1, v9
	v_add_u32_e32 v2, 0x800, v1
	s_waitcnt vmcnt(8) lgkmcnt(2)
	v_mul_f32_e32 v28, v11, v27
	v_mul_f32_e32 v11, v11, v26
	v_fmac_f32_e32 v28, v10, v26
	v_fma_f32 v26, v10, v27, -v11
	v_mul_f32_e32 v27, v8, v13
	v_fmac_f32_e32 v27, v7, v12
	v_mul_f32_e32 v7, v7, v13
	v_fma_f32 v50, v8, v12, -v7
	ds_read2st64_b64 v[10:13], v45 offset0:30 offset1:33
	s_waitcnt vmcnt(7)
	v_mul_f32_e32 v69, v49, v15
	v_mul_f32_e32 v7, v48, v15
	v_fmac_f32_e32 v69, v48, v14
	v_fma_f32 v48, v49, v14, -v7
	v_mul_f32_e32 v49, v62, v17
	v_mul_f32_e32 v7, v61, v17
	v_fmac_f32_e32 v49, v61, v16
	v_fma_f32 v61, v62, v16, -v7
	s_waitcnt vmcnt(6)
	v_mul_f32_e32 v62, v64, v21
	v_mul_f32_e32 v7, v63, v21
	v_fmac_f32_e32 v62, v63, v20
	v_fma_f32 v63, v64, v20, -v7
	s_waitcnt lgkmcnt(0)
	v_mul_f32_e32 v7, v10, v19
	ds_read2st64_b64 v[14:17], v45 offset0:54 offset1:57
	v_mul_f32_e32 v64, v11, v19
	v_fma_f32 v70, v11, v18, -v7
	s_waitcnt vmcnt(5)
	v_mul_f32_e32 v71, v13, v23
	v_mul_f32_e32 v7, v12, v23
	v_fmac_f32_e32 v64, v10, v18
	v_fmac_f32_e32 v71, v12, v22
	v_fma_f32 v72, v13, v22, -v7
	ds_read2st64_b64 v[10:13], v45 offset0:15 offset1:21
	v_mul_f32_e32 v73, v66, v25
	v_mul_f32_e32 v7, v65, v25
	v_fmac_f32_e32 v73, v65, v24
	v_fma_f32 v65, v66, v24, -v7
	s_waitcnt vmcnt(4)
	v_mul_f32_e32 v7, v67, v32
	v_fma_f32 v19, v68, v31, -v7
	s_waitcnt lgkmcnt(1)
	v_mul_f32_e32 v20, v15, v34
	v_mul_f32_e32 v7, v14, v34
	v_fmac_f32_e32 v20, v14, v33
	v_fma_f32 v14, v15, v33, -v7
	s_waitcnt vmcnt(3)
	v_mul_f32_e32 v7, v46, v38
	v_mul_f32_e32 v18, v68, v32
	v_fma_f32 v32, v47, v37, -v7
	s_waitcnt lgkmcnt(0)
	v_mul_f32_e32 v7, v10, v36
	v_mul_f32_e32 v33, v11, v36
	v_fma_f32 v34, v11, v35, -v7
	s_waitcnt vmcnt(2)
	v_mul_f32_e32 v24, v13, v42
	v_mul_f32_e32 v7, v12, v42
	v_fmac_f32_e32 v33, v10, v35
	v_fmac_f32_e32 v24, v12, v41
	v_fma_f32 v25, v13, v41, -v7
	ds_read2st64_b64 v[10:13], v45 offset0:48 offset1:51
	s_waitcnt vmcnt(1)
	v_mul_f32_e32 v7, v16, v56
	v_fmac_f32_e32 v18, v67, v31
	v_mul_f32_e32 v31, v47, v38
	v_fma_f32 v36, v17, v55, -v7
	s_waitcnt lgkmcnt(0)
	v_mul_f32_e32 v7, v10, v54
	v_fmac_f32_e32 v31, v46, v37
	v_mul_f32_e32 v35, v17, v56
	v_mul_f32_e32 v37, v11, v54
	v_fma_f32 v38, v11, v53, -v7
	ds_read_b64 v[7:8], v45 offset:30720
	v_fmac_f32_e32 v35, v16, v55
	v_fmac_f32_e32 v37, v10, v53
	s_waitcnt vmcnt(0)
	v_mul_f32_e32 v55, v13, v58
	v_mul_f32_e32 v10, v12, v58
	v_fmac_f32_e32 v55, v12, v57
	v_fma_f32 v56, v13, v57, -v10
	ds_read2st64_b64 v[10:13], v45 offset1:12
	s_waitcnt lgkmcnt(1)
	v_mul_f32_e32 v57, v8, v60
	v_fmac_f32_e32 v57, v7, v59
	v_mul_f32_e32 v7, v7, v60
	v_fma_f32 v58, v8, v59, -v7
	s_waitcnt lgkmcnt(0)
	v_mul_f32_e32 v41, v13, v40
	v_mul_f32_e32 v7, v12, v40
	v_fmac_f32_e32 v41, v12, v39
	v_fma_f32 v39, v13, v39, -v7
	v_add_f32_e32 v12, v28, v20
	v_add_f32_e32 v13, v27, v18
	;; [unrolled: 1-line block ×11, first 2 shown]
	v_sub_f32_e32 v11, v26, v14
	v_sub_f32_e32 v14, v27, v18
	v_mul_i32_i24_e32 v18, 0xc0, v102
	v_add_f32_e32 v7, v16, v10
	v_sub_f32_e32 v10, v28, v20
	v_add3_u32 v59, 0, v18, v9
	v_sub_f32_e32 v18, v50, v19
	v_sub_f32_e32 v19, v49, v69
	;; [unrolled: 1-line block ×9, first 2 shown]
	v_add_f32_e32 v21, v19, v14
	v_add_f32_e32 v22, v20, v18
	v_sub_f32_e32 v28, v19, v14
	v_sub_f32_e32 v19, v10, v19
	v_sub_f32_e32 v14, v14, v10
	v_add_f32_e32 v10, v21, v10
	v_sub_f32_e32 v21, v20, v18
	v_sub_f32_e32 v20, v11, v20
	;; [unrolled: 1-line block ×3, first 2 shown]
	v_add_f32_e32 v11, v22, v11
	v_mov_b32_e32 v22, v7
	v_fmac_f32_e32 v22, 0xbf955555, v16
	v_mov_b32_e32 v16, v8
	v_mul_f32_e32 v12, 0x3f4a47b2, v12
	v_fmac_f32_e32 v16, 0xbf955555, v23
	v_mul_f32_e32 v23, 0x3d64c772, v13
	v_mul_f32_e32 v17, 0x3f4a47b2, v17
	v_fma_f32 v23, v26, s3, -v23
	v_fma_f32 v26, v26, s10, -v12
	v_fmac_f32_e32 v12, 0x3d64c772, v13
	v_mul_f32_e32 v13, 0x3d64c772, v15
	v_mul_f32_e32 v28, 0x3f08b237, v28
	;; [unrolled: 1-line block ×3, first 2 shown]
	v_fma_f32 v13, v27, s3, -v13
	v_fma_f32 v27, v27, s10, -v17
	v_fmac_f32_e32 v17, 0x3d64c772, v15
	v_mul_f32_e32 v15, 0xbf5ff5aa, v14
	v_fma_f32 v40, v14, s2, -v28
	v_fmac_f32_e32 v28, 0xbeae86e6, v19
	v_fma_f32 v19, v19, s11, -v15
	v_mul_f32_e32 v14, 0xbf5ff5aa, v18
	v_fma_f32 v15, v18, s2, -v21
	v_fmac_f32_e32 v21, 0xbeae86e6, v20
	v_fma_f32 v18, v20, s11, -v14
	v_add_f32_e32 v20, v12, v22
	v_add_f32_e32 v42, v17, v16
	v_fmac_f32_e32 v28, 0xbee1c552, v10
	v_fmac_f32_e32 v21, 0xbee1c552, v11
	v_add_f32_e32 v14, v23, v22
	v_add_f32_e32 v17, v13, v16
	;; [unrolled: 1-line block ×3, first 2 shown]
	v_fmac_f32_e32 v40, 0xbee1c552, v10
	v_fmac_f32_e32 v15, 0xbee1c552, v11
	;; [unrolled: 1-line block ×4, first 2 shown]
	v_add_f32_e32 v10, v21, v20
	v_sub_f32_e32 v11, v42, v28
	v_sub_f32_e32 v20, v20, v21
	v_add_f32_e32 v21, v28, v42
	v_add_f32_e32 v26, v41, v35
	;; [unrolled: 1-line block ×4, first 2 shown]
	v_sub_f32_e32 v12, v14, v15
	v_add_f32_e32 v13, v40, v17
	v_add_f32_e32 v14, v15, v14
	v_sub_f32_e32 v15, v17, v40
	v_add_f32_e32 v16, v18, v22
	v_sub_f32_e32 v18, v22, v18
	v_add_f32_e32 v40, v64, v62
	v_add_f32_e32 v22, v28, v26
	v_sub_f32_e32 v17, v23, v19
	v_add_f32_e32 v19, v19, v23
	v_add_f32_e32 v42, v40, v22
	ds_read_b64 v[22:23], v59
	v_add_f32_e32 v27, v39, v36
	v_add_f32_e32 v46, v25, v38
	;; [unrolled: 1-line block ×3, first 2 shown]
	v_sub_f32_e32 v24, v24, v37
	v_sub_f32_e32 v37, v62, v64
	v_add_f32_e32 v48, v46, v27
	v_sub_f32_e32 v35, v41, v35
	v_sub_f32_e32 v36, v39, v36
	;; [unrolled: 1-line block ×9, first 2 shown]
	v_add_f32_e32 v46, v37, v24
	v_add_f32_e32 v48, v47, v48
	s_waitcnt lgkmcnt(0)
	v_add_f32_e32 v22, v42, v22
	v_sub_f32_e32 v27, v27, v47
	v_sub_f32_e32 v47, v37, v24
	;; [unrolled: 1-line block ×4, first 2 shown]
	v_add_f32_e32 v35, v46, v35
	v_add_f32_e32 v46, v38, v25
	;; [unrolled: 1-line block ×3, first 2 shown]
	v_sub_f32_e32 v49, v38, v25
	v_sub_f32_e32 v38, v36, v38
	;; [unrolled: 1-line block ×3, first 2 shown]
	v_add_f32_e32 v36, v46, v36
	v_mov_b32_e32 v46, v22
	v_fmac_f32_e32 v46, 0xbf955555, v42
	v_mov_b32_e32 v42, v23
	v_fmac_f32_e32 v42, 0xbf955555, v48
	v_mul_f32_e32 v26, 0x3f4a47b2, v26
	v_mul_f32_e32 v48, 0x3d64c772, v28
	v_fma_f32 v48, v39, s3, -v48
	v_fma_f32 v39, v39, s10, -v26
	v_fmac_f32_e32 v26, 0x3d64c772, v28
	v_mul_f32_e32 v27, 0x3f4a47b2, v27
	v_mul_f32_e32 v28, 0x3d64c772, v41
	;; [unrolled: 1-line block ×3, first 2 shown]
	v_fma_f32 v28, v40, s3, -v28
	v_fma_f32 v40, v40, s10, -v27
	v_fmac_f32_e32 v27, 0x3d64c772, v41
	v_mul_f32_e32 v41, 0xbf5ff5aa, v24
	v_fma_f32 v47, v24, s2, -v50
	v_mul_f32_e32 v53, 0x3f08b237, v49
	v_mul_f32_e32 v24, 0xbf5ff5aa, v25
	v_fmac_f32_e32 v50, 0xbeae86e6, v37
	v_fma_f32 v37, v37, s11, -v41
	v_fma_f32 v41, v25, s2, -v53
	v_fmac_f32_e32 v53, 0xbeae86e6, v38
	v_fma_f32 v38, v38, s11, -v24
	v_add_f32_e32 v54, v26, v46
	v_add_f32_e32 v26, v48, v46
	;; [unrolled: 1-line block ×6, first 2 shown]
	v_fmac_f32_e32 v47, 0xbee1c552, v35
	v_fmac_f32_e32 v41, 0xbee1c552, v36
	;; [unrolled: 1-line block ×6, first 2 shown]
	v_sub_f32_e32 v24, v26, v41
	v_add_f32_e32 v25, v47, v27
	v_add_f32_e32 v26, v41, v26
	v_sub_f32_e32 v27, v27, v47
	v_add_f32_e32 v41, v38, v39
	v_sub_f32_e32 v42, v28, v37
	v_sub_f32_e32 v46, v39, v38
	v_add_f32_e32 v47, v37, v28
	v_add_f32_e32 v28, v33, v57
	;; [unrolled: 1-line block ×6, first 2 shown]
	v_sub_f32_e32 v49, v60, v50
	v_sub_f32_e32 v53, v54, v53
	v_add_f32_e32 v54, v50, v60
	v_add_f32_e32 v36, v71, v73
	;; [unrolled: 1-line block ×5, first 2 shown]
	v_sub_f32_e32 v31, v31, v55
	v_sub_f32_e32 v55, v73, v71
	v_add_f32_e32 v37, v36, v37
	v_add_f32_e32 v50, v40, v50
	v_sub_f32_e32 v33, v33, v57
	v_sub_f32_e32 v32, v32, v56
	;; [unrolled: 1-line block ×9, first 2 shown]
	v_add_f32_e32 v40, v55, v31
	v_add_f32_e32 v43, v37, v43
	v_sub_f32_e32 v34, v34, v58
	v_sub_f32_e32 v58, v55, v31
	;; [unrolled: 1-line block ×4, first 2 shown]
	v_add_f32_e32 v33, v40, v33
	v_add_f32_e32 v40, v56, v32
	v_add_f32_e32 v44, v50, v44
	v_sub_f32_e32 v60, v56, v32
	v_sub_f32_e32 v56, v34, v56
	;; [unrolled: 1-line block ×3, first 2 shown]
	v_add_f32_e32 v34, v40, v34
	v_mov_b32_e32 v40, v43
	v_fmac_f32_e32 v40, 0xbf955555, v37
	v_mov_b32_e32 v37, v44
	s_barrier
	ds_write2_b64 v1, v[7:8], v[10:11] offset1:72
	ds_write2_b64 v1, v[16:17], v[12:13] offset0:144 offset1:216
	ds_write2_b64 v2, v[14:15], v[18:19] offset0:32 offset1:104
	ds_write_b64 v1, v[20:21] offset:3456
	v_mad_u32_u24 v1, v3, 21, v4
	v_fmac_f32_e32 v37, 0xbf955555, v50
	v_mul_f32_e32 v28, 0x3f4a47b2, v28
	v_mul_f32_e32 v50, 0x3d64c772, v35
	v_mul_u32_u24_e32 v1, 0xc0, v1
	v_fma_f32 v50, v57, s3, -v50
	v_fma_f32 v57, v57, s10, -v28
	v_fmac_f32_e32 v28, 0x3d64c772, v35
	v_mul_f32_e32 v35, 0x3f4a47b2, v38
	v_mul_f32_e32 v38, 0x3d64c772, v39
	v_add3_u32 v1, 0, v1, v9
	v_fma_f32 v38, v36, s3, -v38
	v_fma_f32 v36, v36, s10, -v35
	v_fmac_f32_e32 v35, 0x3d64c772, v39
	v_mul_f32_e32 v58, 0x3f08b237, v58
	v_mul_f32_e32 v39, 0xbf5ff5aa, v31
	v_add_u32_e32 v2, 0x800, v1
	v_fma_f32 v31, v31, s2, -v58
	v_fmac_f32_e32 v58, 0xbeae86e6, v55
	v_fma_f32 v39, v55, s11, -v39
	v_mul_f32_e32 v60, 0x3f08b237, v60
	v_mul_f32_e32 v55, 0xbf5ff5aa, v32
	ds_write2_b64 v1, v[22:23], v[48:49] offset1:72
	ds_write2_b64 v1, v[41:42], v[24:25] offset0:144 offset1:216
	ds_write2_b64 v2, v[26:27], v[46:47] offset0:32 offset1:104
	ds_write_b64 v1, v[53:54] offset:3456
	v_mad_u32_u24 v1, v5, 21, v6
	v_fma_f32 v32, v32, s2, -v60
	v_fmac_f32_e32 v60, 0xbeae86e6, v56
	v_fma_f32 v55, v56, s11, -v55
	v_mul_u32_u24_e32 v1, 0xc0, v1
	v_add_f32_e32 v28, v28, v40
	v_add_f32_e32 v50, v50, v40
	;; [unrolled: 1-line block ×6, first 2 shown]
	v_fmac_f32_e32 v58, 0xbee1c552, v33
	v_fmac_f32_e32 v60, 0xbee1c552, v34
	;; [unrolled: 1-line block ×6, first 2 shown]
	v_add3_u32 v1, 0, v1, v9
	v_sub_f32_e32 v35, v50, v32
	v_add_f32_e32 v36, v31, v38
	v_add_f32_e32 v33, v32, v50
	v_sub_f32_e32 v34, v38, v31
	v_add_f32_e32 v31, v55, v40
	v_sub_f32_e32 v32, v56, v39
	v_sub_f32_e32 v37, v40, v55
	v_add_f32_e32 v38, v39, v56
	v_add_f32_e32 v55, v60, v28
	v_sub_f32_e32 v56, v57, v58
	v_add_u32_e32 v2, 0x800, v1
	v_sub_f32_e32 v39, v28, v60
	v_add_f32_e32 v40, v58, v57
	ds_write2_b64 v1, v[43:44], v[55:56] offset1:72
	ds_write2_b64 v1, v[31:32], v[35:36] offset0:144 offset1:216
	ds_write2_b64 v2, v[33:34], v[37:38] offset0:32 offset1:104
	ds_write_b64 v1, v[39:40] offset:3456
	v_add_u32_e32 v1, 0x1c0, v45
	s_waitcnt lgkmcnt(0)
	s_barrier
	ds_read2st64_b64 v[25:28], v1 offset0:7 offset1:10
	v_add_u32_e32 v1, 0x180, v45
	ds_read2st64_b64 v[21:24], v1 offset0:15 offset1:18
	v_add_u32_e32 v1, 0x140, v45
	v_add_u32_e32 v5, 0x100, v45
	;; [unrolled: 1-line block ×5, first 2 shown]
	ds_read2st64_b64 v[1:4], v1 offset0:23 offset1:26
	ds_read2st64_b64 v[5:8], v5 offset0:31 offset1:34
	;; [unrolled: 1-line block ×5, first 2 shown]
	ds_read_b64 v[49:50], v45
	ds_read_b64 v[47:48], v59
	s_movk_i32 s2, 0x78
	v_cmp_gt_u32_e64 s[2:3], s2, v0
                                        ; implicit-def: $vgpr42
                                        ; implicit-def: $vgpr44
                                        ; implicit-def: $vgpr46
	s_and_saveexec_b64 s[10:11], s[2:3]
	s_cbranch_execz .LBB0_12
; %bb.11:
	ds_read_b64 v[35:36], v45 offset:7104
	ds_read_b64 v[33:34], v45 offset:11136
	ds_read_b64 v[37:38], v45 offset:15168
	ds_read_b64 v[39:40], v45 offset:19200
	ds_read_b64 v[41:42], v45 offset:23232
	ds_read_b64 v[43:44], v45 offset:27264
	ds_read_b64 v[31:32], v52
	ds_read_b64 v[45:46], v45 offset:31296
.LBB0_12:
	s_or_b64 exec, exec, s[10:11]
	v_and_b32_e32 v103, 0xffff, v99
	v_mul_u32_u24_e32 v0, 7, v103
	v_lshlrev_b32_e32 v0, 3, v0
	s_movk_i32 s10, 0x87
	global_load_dwordx4 v[53:56], v0, s[18:19] offset:144
	global_load_dwordx4 v[57:60], v0, s[18:19] offset:160
	;; [unrolled: 1-line block ×3, first 2 shown]
	global_load_dwordx2 v[77:78], v0, s[18:19] offset:192
	v_mul_lo_u16_sdwa v0, v102, s10 dst_sel:DWORD dst_unused:UNUSED_PAD src0_sel:BYTE_0 src1_sel:DWORD
	v_sub_u16_sdwa v52, v102, v0 dst_sel:DWORD dst_unused:UNUSED_PAD src0_sel:DWORD src1_sel:BYTE_1
	v_lshrrev_b16_e32 v52, 1, v52
	v_and_b32_e32 v52, 0x7f, v52
	v_add_u16_sdwa v0, v52, v0 dst_sel:DWORD dst_unused:UNUSED_PAD src0_sel:DWORD src1_sel:BYTE_1
	v_lshrrev_b16_e32 v0, 4, v0
	v_and_b32_e32 v104, 15, v0
	v_mul_lo_u16_e32 v0, 21, v104
	v_sub_u16_e32 v0, v102, v0
	v_and_b32_e32 v52, 0xff, v0
	v_mul_u32_u24_e32 v0, 7, v52
	v_lshlrev_b32_e32 v0, 3, v0
	global_load_dwordx4 v[65:68], v0, s[18:19] offset:144
	global_load_dwordx4 v[69:72], v0, s[18:19] offset:160
	;; [unrolled: 1-line block ×3, first 2 shown]
	global_load_dwordx2 v[79:80], v0, s[18:19] offset:192
	v_mul_lo_u16_sdwa v0, v51, s10 dst_sel:DWORD dst_unused:UNUSED_PAD src0_sel:BYTE_0 src1_sel:DWORD
	v_sub_u16_sdwa v81, v51, v0 dst_sel:DWORD dst_unused:UNUSED_PAD src0_sel:DWORD src1_sel:BYTE_1
	v_lshrrev_b16_e32 v81, 1, v81
	v_and_b32_e32 v81, 0x7f, v81
	v_add_u16_sdwa v0, v81, v0 dst_sel:DWORD dst_unused:UNUSED_PAD src0_sel:DWORD src1_sel:BYTE_1
	v_lshrrev_b16_e32 v0, 4, v0
	v_and_b32_e32 v0, 15, v0
	v_mul_lo_u16_e32 v0, 21, v0
	v_sub_u16_e32 v0, v51, v0
	s_load_dwordx2 s[4:5], s[4:5], 0x8
	v_add_u32_e32 v105, 42, v103
	v_add_u32_e32 v106, 63, v103
	;; [unrolled: 1-line block ×6, first 2 shown]
	v_and_b32_e32 v0, 0xff, v0
	s_movk_i32 s10, 0x93
	s_andn2_b64 vcc, exec, s[0:1]
	s_waitcnt vmcnt(7) lgkmcnt(0)
	v_mul_f32_e32 v51, v54, v26
	v_mul_f32_e32 v54, v54, v25
	;; [unrolled: 1-line block ×4, first 2 shown]
	s_waitcnt vmcnt(6)
	v_mul_f32_e32 v82, v58, v2
	v_fmac_f32_e32 v51, v53, v25
	v_fma_f32 v25, v53, v26, -v54
	v_fmac_f32_e32 v81, v55, v21
	v_fma_f32 v21, v55, v22, -v56
	v_mul_f32_e32 v22, v58, v1
	v_mul_f32_e32 v26, v60, v6
	;; [unrolled: 1-line block ×3, first 2 shown]
	v_fmac_f32_e32 v82, v57, v1
	v_fma_f32 v1, v57, v2, -v22
	v_fmac_f32_e32 v26, v59, v5
	v_fma_f32 v2, v59, v6, -v53
	s_waitcnt vmcnt(5)
	v_mul_f32_e32 v5, v62, v9
	s_waitcnt vmcnt(4)
	v_mul_f32_e32 v53, v78, v18
	v_mul_f32_e32 v54, v62, v10
	;; [unrolled: 1-line block ×3, first 2 shown]
	v_fma_f32 v5, v61, v10, -v5
	v_mul_f32_e32 v10, v78, v17
	v_fmac_f32_e32 v53, v77, v17
	v_sub_f32_e32 v17, v49, v26
	v_mul_f32_e32 v22, v64, v13
	v_fmac_f32_e32 v6, v63, v13
	v_fma_f32 v10, v77, v18, -v10
	v_fma_f32 v13, v49, 2.0, -v17
	s_waitcnt vmcnt(3)
	v_mul_f32_e32 v49, v66, v28
	v_mul_f32_e32 v18, v66, v27
	v_fmac_f32_e32 v54, v61, v9
	v_fma_f32 v9, v63, v14, -v22
	v_mul_f32_e32 v22, v23, v68
	s_waitcnt vmcnt(2)
	v_mul_f32_e32 v57, v4, v70
	v_fmac_f32_e32 v49, v65, v27
	v_fma_f32 v27, v65, v28, -v18
	v_mul_f32_e32 v18, v3, v70
	v_sub_f32_e32 v2, v50, v2
	v_mul_f32_e32 v58, v8, v72
	v_mul_f32_e32 v26, v7, v72
	v_fma_f32 v60, v24, v67, -v22
	s_waitcnt vmcnt(1)
	v_mul_f32_e32 v22, v11, v74
	v_fmac_f32_e32 v57, v3, v69
	v_fma_f32 v3, v4, v69, -v18
	v_sub_f32_e32 v4, v21, v9
	v_fma_f32 v14, v50, 2.0, -v2
	v_mul_f32_e32 v59, v12, v74
	v_fmac_f32_e32 v58, v7, v71
	v_fma_f32 v7, v8, v71, -v26
	v_fma_f32 v8, v12, v73, -v22
	v_fma_f32 v12, v21, 2.0, -v4
	v_sub_f32_e32 v72, v14, v12
	v_mul_lo_u32 v12, v29, v103
	v_sub_f32_e32 v6, v81, v6
	v_mul_f32_e32 v50, v24, v68
	s_waitcnt vmcnt(0)
	v_mul_f32_e32 v24, v19, v80
	v_sub_f32_e32 v10, v1, v10
	v_fmac_f32_e32 v50, v23, v67
	v_mul_f32_e32 v61, v16, v76
	v_mul_f32_e32 v23, v15, v76
	v_fma_f32 v63, v20, v79, -v24
	v_fma_f32 v9, v81, 2.0, -v6
	v_fma_f32 v24, v1, 2.0, -v10
	v_mov_b32_e32 v1, 3
	v_fmac_f32_e32 v59, v11, v73
	v_fmac_f32_e32 v61, v15, v75
	v_fma_f32 v11, v16, v75, -v23
	v_sub_f32_e32 v71, v13, v9
	v_add_f32_e32 v75, v17, v4
	v_sub_f32_e32 v76, v2, v6
	v_lshlrev_b32_sdwa v4, v1, v12 dst_sel:DWORD dst_unused:UNUSED_PAD src0_sel:DWORD src1_sel:BYTE_0
	v_lshlrev_b32_sdwa v6, v1, v12 dst_sel:DWORD dst_unused:UNUSED_PAD src0_sel:DWORD src1_sel:BYTE_1
	v_add_u32_e32 v28, 21, v103
	v_fma_f32 v9, v13, 2.0, -v71
	v_fma_f32 v26, v14, 2.0, -v72
	global_load_dwordx2 v[12:13], v4, s[4:5]
	global_load_dwordx2 v[14:15], v6, s[4:5] offset:2048
	v_mul_lo_u32 v4, v29, v28
	v_mul_lo_u32 v6, v29, v105
	v_mul_f32_e32 v62, v20, v80
	v_sub_f32_e32 v20, v51, v54
	v_sub_f32_e32 v5, v25, v5
	;; [unrolled: 1-line block ×3, first 2 shown]
	v_fma_f32 v21, v51, 2.0, -v20
	v_fma_f32 v22, v25, 2.0, -v5
	;; [unrolled: 1-line block ×4, first 2 shown]
	v_sub_f32_e32 v73, v21, v16
	v_lshlrev_b32_sdwa v2, v1, v4 dst_sel:DWORD dst_unused:UNUSED_PAD src0_sel:DWORD src1_sel:BYTE_0
	v_lshlrev_b32_sdwa v4, v1, v4 dst_sel:DWORD dst_unused:UNUSED_PAD src0_sel:DWORD src1_sel:BYTE_1
	v_sub_f32_e32 v74, v22, v24
	v_add_f32_e32 v10, v20, v10
	v_lshlrev_b32_sdwa v24, v1, v6 dst_sel:DWORD dst_unused:UNUSED_PAD src0_sel:DWORD src1_sel:BYTE_0
	v_lshlrev_b32_sdwa v6, v1, v6 dst_sel:DWORD dst_unused:UNUSED_PAD src0_sel:DWORD src1_sel:BYTE_1
	v_fmac_f32_e32 v62, v19, v79
	v_fma_f32 v69, v17, 2.0, -v75
	global_load_dwordx2 v[16:17], v2, s[4:5]
	global_load_dwordx2 v[18:19], v4, s[4:5] offset:2048
	v_fma_f32 v2, v21, 2.0, -v73
	v_fma_f32 v4, v22, 2.0, -v74
	v_sub_f32_e32 v51, v5, v23
	v_fma_f32 v53, v20, 2.0, -v10
	global_load_dwordx2 v[20:21], v24, s[4:5]
	global_load_dwordx2 v[22:23], v6, s[4:5] offset:2048
	v_mul_lo_u32 v6, v29, v106
	v_sub_f32_e32 v77, v9, v2
	v_sub_f32_e32 v78, v26, v4
	v_mov_b32_e32 v81, v69
	v_lshlrev_b32_sdwa v2, v1, v6 dst_sel:DWORD dst_unused:UNUSED_PAD src0_sel:DWORD src1_sel:BYTE_0
	v_lshlrev_b32_sdwa v4, v1, v6 dst_sel:DWORD dst_unused:UNUSED_PAD src0_sel:DWORD src1_sel:BYTE_1
	global_load_dwordx2 v[24:25], v2, s[4:5]
	global_load_dwordx2 v[55:56], v4, s[4:5] offset:2048
	v_fma_f32 v5, v5, 2.0, -v51
	v_fma_f32 v80, v26, 2.0, -v78
	v_fmac_f32_e32 v81, 0xbf3504f3, v53
	v_mov_b32_e32 v82, v70
	v_mov_b32_e32 v26, v76
	v_sub_f32_e32 v54, v49, v59
	v_fmac_f32_e32 v82, 0xbf3504f3, v5
	v_fmac_f32_e32 v81, 0x3f3504f3, v5
	v_mov_b32_e32 v4, v75
	v_fmac_f32_e32 v26, 0x3f3504f3, v51
	v_sub_f32_e32 v5, v50, v61
	v_sub_f32_e32 v65, v27, v8
	v_fma_f32 v8, v49, 2.0, -v54
	v_mul_lo_u32 v49, v29, v107
	v_fmac_f32_e32 v4, 0x3f3504f3, v10
	v_fmac_f32_e32 v26, 0xbf3504f3, v10
	v_fma_f32 v10, v50, 2.0, -v5
	v_mul_lo_u32 v50, v29, v108
	v_fmac_f32_e32 v82, 0xbf3504f3, v53
	v_sub_f32_e32 v53, v48, v7
	v_sub_f32_e32 v66, v3, v63
	v_fma_f32 v79, v9, 2.0, -v77
	v_fmac_f32_e32 v4, 0x3f3504f3, v51
	v_sub_f32_e32 v51, v47, v58
	v_fma_f32 v7, v48, 2.0, -v53
	v_sub_f32_e32 v2, v60, v11
	v_fma_f32 v9, v27, 2.0, -v65
	;; [unrolled: 2-line block ×3, first 2 shown]
	v_lshlrev_b32_sdwa v3, v1, v49 dst_sel:DWORD dst_unused:UNUSED_PAD src0_sel:DWORD src1_sel:BYTE_0
	v_fma_f32 v6, v47, 2.0, -v51
	v_fma_f32 v11, v60, 2.0, -v2
	;; [unrolled: 1-line block ×3, first 2 shown]
	v_lshlrev_b32_sdwa v49, v1, v49 dst_sel:DWORD dst_unused:UNUSED_PAD src0_sel:DWORD src1_sel:BYTE_1
	global_load_dwordx2 v[57:58], v3, s[4:5]
	global_load_dwordx2 v[59:60], v49, s[4:5] offset:2048
	v_lshlrev_b32_sdwa v3, v1, v50 dst_sel:DWORD dst_unused:UNUSED_PAD src0_sel:DWORD src1_sel:BYTE_0
	v_lshlrev_b32_sdwa v49, v1, v50 dst_sel:DWORD dst_unused:UNUSED_PAD src0_sel:DWORD src1_sel:BYTE_1
	global_load_dwordx2 v[61:62], v3, s[4:5]
	global_load_dwordx2 v[63:64], v49, s[4:5] offset:2048
	v_sub_f32_e32 v83, v65, v27
	v_add_f32_e32 v2, v51, v2
	v_sub_f32_e32 v5, v53, v5
	v_fma_f32 v49, v51, 2.0, -v2
	v_fma_f32 v50, v53, 2.0, -v5
	v_add_f32_e32 v51, v54, v66
	v_fma_f32 v3, v54, 2.0, -v51
	v_mov_b32_e32 v54, v50
	v_sub_f32_e32 v10, v6, v10
	s_waitcnt vmcnt(10)
	v_mul_f32_e32 v27, v13, v15
	v_fma_f32 v84, v12, v14, -v27
	v_mul_f32_e32 v12, v12, v15
	v_fmac_f32_e32 v12, v13, v14
	v_mul_lo_u32 v13, v29, v109
	v_fma_f32 v14, v65, 2.0, -v83
	v_mov_b32_e32 v27, v49
	v_fmac_f32_e32 v54, 0xbf3504f3, v14
	v_fmac_f32_e32 v27, 0xbf3504f3, v3
	;; [unrolled: 1-line block ×4, first 2 shown]
	v_sub_f32_e32 v47, v8, v47
	v_sub_f32_e32 v11, v7, v11
	v_fma_f32 v6, v6, 2.0, -v10
	v_sub_f32_e32 v48, v9, v48
	v_fma_f32 v8, v8, 2.0, -v47
	v_fma_f32 v7, v7, 2.0, -v11
	;; [unrolled: 1-line block ×3, first 2 shown]
	v_sub_f32_e32 v47, v11, v47
	v_add_f32_e32 v48, v10, v48
	s_waitcnt vmcnt(8)
	v_mul_f32_e32 v15, v17, v19
	v_fma_f32 v15, v16, v18, -v15
	v_mul_f32_e32 v19, v16, v19
	v_lshlrev_b32_sdwa v16, v1, v13 dst_sel:DWORD dst_unused:UNUSED_PAD src0_sel:DWORD src1_sel:BYTE_0
	v_lshlrev_b32_sdwa v13, v1, v13 dst_sel:DWORD dst_unused:UNUSED_PAD src0_sel:DWORD src1_sel:BYTE_1
	s_waitcnt vmcnt(6)
	v_mul_f32_e32 v3, v21, v23
	global_load_dwordx2 v[65:66], v16, s[4:5]
	global_load_dwordx2 v[67:68], v13, s[4:5] offset:2048
	v_fma_f32 v14, v20, v22, -v3
	v_mul_f32_e32 v20, v20, v23
	v_fmac_f32_e32 v20, v21, v22
	v_fmac_f32_e32 v19, v17, v18
	v_mul_f32_e32 v16, v80, v12
	s_waitcnt vmcnt(6)
	v_mul_f32_e32 v13, v25, v56
	v_fma_f32 v21, v24, v55, -v13
	v_mul_lo_u32 v13, v29, v110
	v_mul_f32_e32 v22, v24, v56
	v_mul_lo_u32 v24, v29, v52
	v_mul_f32_e32 v12, v79, v12
	v_lshlrev_b32_sdwa v17, v1, v13 dst_sel:DWORD dst_unused:UNUSED_PAD src0_sel:DWORD src1_sel:BYTE_0
	v_lshlrev_b32_sdwa v13, v1, v13 dst_sel:DWORD dst_unused:UNUSED_PAD src0_sel:DWORD src1_sel:BYTE_1
	v_fma_f32 v23, v70, 2.0, -v82
	v_fmac_f32_e32 v22, v25, v55
	global_load_dwordx2 v[55:56], v17, s[4:5]
	v_fma_f32 v18, v69, 2.0, -v81
	global_load_dwordx2 v[69:70], v13, s[4:5] offset:2048
	v_fma_f32 v17, v80, v84, -v12
	v_mul_f32_e32 v12, v23, v19
	v_fmac_f32_e32 v16, v79, v84
	v_fmac_f32_e32 v12, v18, v15
	v_mul_f32_e32 v18, v18, v19
	v_add_f32_e32 v25, v71, v74
	v_sub_f32_e32 v79, v72, v73
	v_fma_f32 v13, v23, v15, -v18
	v_lshlrev_b32_sdwa v15, v1, v24 dst_sel:DWORD dst_unused:UNUSED_PAD src0_sel:DWORD src1_sel:BYTE_0
	v_lshlrev_b32_sdwa v23, v1, v24 dst_sel:DWORD dst_unused:UNUSED_PAD src0_sel:DWORD src1_sel:BYTE_1
	v_fma_f32 v24, v71, 2.0, -v25
	v_fma_f32 v19, v72, 2.0, -v79
	v_mul_f32_e32 v18, v19, v20
	v_mul_f32_e32 v20, v24, v20
	v_fma_f32 v19, v19, v14, -v20
	v_fma_f32 v20, v76, 2.0, -v26
	global_load_dwordx2 v[71:72], v15, s[4:5]
	global_load_dwordx2 v[73:74], v23, s[4:5] offset:2048
	v_fma_f32 v15, v75, 2.0, -v4
	v_fmac_f32_e32 v18, v24, v14
	v_mul_f32_e32 v14, v20, v22
	v_add_u32_e32 v23, 21, v52
	v_fmac_f32_e32 v14, v15, v21
	v_mul_f32_e32 v15, v15, v22
	v_mul_lo_u32 v23, v29, v23
	v_fma_f32 v15, v20, v21, -v15
	s_waitcnt vmcnt(8)
	v_mul_f32_e32 v20, v58, v60
	v_fma_f32 v22, v57, v59, -v20
	v_mul_f32_e32 v21, v57, v60
	s_waitcnt vmcnt(6)
	v_mul_f32_e32 v20, v62, v64
	v_add_u32_e32 v57, 42, v52
	v_fma_f32 v24, v61, v63, -v20
	v_mul_f32_e32 v75, v61, v64
	v_mul_lo_u32 v61, v29, v57
	v_lshlrev_b32_sdwa v20, v1, v23 dst_sel:DWORD dst_unused:UNUSED_PAD src0_sel:DWORD src1_sel:BYTE_0
	v_fmac_f32_e32 v21, v58, v59
	v_lshlrev_b32_sdwa v23, v1, v23 dst_sel:DWORD dst_unused:UNUSED_PAD src0_sel:DWORD src1_sel:BYTE_1
	global_load_dwordx2 v[57:58], v20, s[4:5]
	global_load_dwordx2 v[59:60], v23, s[4:5] offset:2048
	v_lshlrev_b32_sdwa v23, v1, v61 dst_sel:DWORD dst_unused:UNUSED_PAD src0_sel:DWORD src1_sel:BYTE_0
	v_fmac_f32_e32 v75, v62, v63
	v_lshlrev_b32_sdwa v76, v1, v61 dst_sel:DWORD dst_unused:UNUSED_PAD src0_sel:DWORD src1_sel:BYTE_1
	global_load_dwordx2 v[61:62], v23, s[4:5]
	global_load_dwordx2 v[63:64], v76, s[4:5] offset:2048
	v_mul_f32_e32 v20, v78, v21
	v_mul_f32_e32 v21, v77, v21
	v_fma_f32 v21, v78, v22, -v21
	v_fmac_f32_e32 v20, v77, v22
	v_mul_f32_e32 v22, v82, v75
	v_mul_f32_e32 v23, v81, v75
	v_fmac_f32_e32 v22, v81, v24
	v_fma_f32 v23, v82, v24, -v23
	v_mov_b32_e32 v3, v5
	v_fma_f32 v11, v11, 2.0, -v47
	v_mov_b32_e32 v53, v2
	v_fmac_f32_e32 v3, 0x3f3504f3, v83
	v_fma_f32 v10, v10, 2.0, -v48
	v_fmac_f32_e32 v53, 0x3f3504f3, v51
	v_fmac_f32_e32 v3, 0xbf3504f3, v51
	v_fmac_f32_e32 v53, 0x3f3504f3, v83
	v_fma_f32 v5, v5, 2.0, -v3
	v_fma_f32 v2, v2, 2.0, -v53
	s_waitcnt vmcnt(8)
	v_mul_f32_e32 v24, v66, v68
	v_fma_f32 v75, v65, v67, -v24
	v_mul_f32_e32 v65, v65, v68
	v_fmac_f32_e32 v65, v66, v67
	v_add_u32_e32 v66, 63, v52
	v_mul_lo_u32 v66, v29, v66
	v_mul_f32_e32 v24, v79, v65
	v_fmac_f32_e32 v24, v25, v75
	v_mul_f32_e32 v25, v25, v65
	v_lshlrev_b32_sdwa v76, v1, v66 dst_sel:DWORD dst_unused:UNUSED_PAD src0_sel:DWORD src1_sel:BYTE_0
	v_add_u32_e32 v65, 0x54, v52
	v_lshlrev_b32_sdwa v77, v1, v66 dst_sel:DWORD dst_unused:UNUSED_PAD src0_sel:DWORD src1_sel:BYTE_1
	v_mul_lo_u32 v78, v29, v65
	global_load_dwordx2 v[65:66], v76, s[4:5]
	global_load_dwordx2 v[67:68], v77, s[4:5] offset:2048
	v_fma_f32 v25, v79, v75, -v25
	s_waitcnt vmcnt(8)
	v_mul_f32_e32 v76, v55, v70
	v_mul_f32_e32 v75, v56, v70
	v_fmac_f32_e32 v76, v56, v69
	v_add_u32_e32 v56, 0x69, v52
	v_mul_lo_u32 v77, v29, v56
	v_fma_f32 v75, v55, v69, -v75
	v_lshlrev_b32_sdwa v55, v1, v78 dst_sel:DWORD dst_unused:UNUSED_PAD src0_sel:DWORD src1_sel:BYTE_0
	v_lshlrev_b32_sdwa v70, v1, v78 dst_sel:DWORD dst_unused:UNUSED_PAD src0_sel:DWORD src1_sel:BYTE_1
	global_load_dwordx2 v[55:56], v55, s[4:5]
	v_mul_f32_e32 v85, v26, v76
	v_fmac_f32_e32 v85, v4, v75
	s_waitcnt vmcnt(7)
	v_mul_f32_e32 v69, v72, v74
	v_fma_f32 v78, v71, v73, -v69
	global_load_dwordx2 v[69:70], v70, s[4:5] offset:2048
	v_mul_f32_e32 v71, v71, v74
	v_fmac_f32_e32 v71, v72, v73
	v_lshlrev_b32_sdwa v72, v1, v77 dst_sel:DWORD dst_unused:UNUSED_PAD src0_sel:DWORD src1_sel:BYTE_0
	v_lshlrev_b32_sdwa v73, v1, v77 dst_sel:DWORD dst_unused:UNUSED_PAD src0_sel:DWORD src1_sel:BYTE_1
	s_waitcnt vmcnt(6)
	v_mul_f32_e32 v74, v58, v60
	v_mul_f32_e32 v77, v57, v60
	v_fma_f32 v74, v57, v59, -v74
	v_fmac_f32_e32 v77, v58, v59
	global_load_dwordx2 v[57:58], v72, s[4:5]
	v_add_u32_e32 v59, 0x7e, v52
	v_mul_lo_u32 v72, v29, v59
	s_waitcnt vmcnt(5)
	v_mul_f32_e32 v59, v62, v64
	v_fma_f32 v79, v61, v63, -v59
	v_mul_f32_e32 v80, v61, v64
	global_load_dwordx2 v[59:60], v73, s[4:5] offset:2048
	v_add_u32_e32 v52, 0x93, v52
	v_mul_f32_e32 v61, v4, v76
	v_fma_f32 v86, v26, v75, -v61
	v_mul_lo_u32 v26, v29, v52
	v_lshlrev_b32_sdwa v73, v1, v72 dst_sel:DWORD dst_unused:UNUSED_PAD src0_sel:DWORD src1_sel:BYTE_0
	v_lshlrev_b32_sdwa v72, v1, v72 dst_sel:DWORD dst_unused:UNUSED_PAD src0_sel:DWORD src1_sel:BYTE_1
	v_sub_f32_e32 v52, v6, v8
	v_fmac_f32_e32 v80, v62, v63
	global_load_dwordx2 v[61:62], v73, s[4:5]
	global_load_dwordx2 v[63:64], v72, s[4:5] offset:2048
	v_sub_f32_e32 v72, v7, v9
	v_fma_f32 v73, v6, 2.0, -v52
	v_fma_f32 v6, v7, 2.0, -v72
	v_mul_f32_e32 v4, v73, v71
	v_fma_f32 v92, v6, v78, -v4
	v_lshlrev_b32_sdwa v4, v1, v26 dst_sel:DWORD dst_unused:UNUSED_PAD src0_sel:DWORD src1_sel:BYTE_0
	v_lshlrev_b32_sdwa v8, v1, v26 dst_sel:DWORD dst_unused:UNUSED_PAD src0_sel:DWORD src1_sel:BYTE_1
	v_mul_f32_e32 v91, v6, v71
	global_load_dwordx2 v[6:7], v4, s[4:5]
	v_fma_f32 v26, v50, 2.0, -v54
	global_load_dwordx2 v[8:9], v8, s[4:5] offset:2048
	v_fma_f32 v4, v49, 2.0, -v27
	v_mul_f32_e32 v93, v26, v77
	v_fmac_f32_e32 v93, v4, v74
	v_mul_f32_e32 v4, v4, v77
	v_mul_f32_e32 v95, v11, v80
	v_fma_f32 v94, v26, v74, -v4
	v_fmac_f32_e32 v95, v10, v79
	v_mul_f32_e32 v4, v10, v80
	s_waitcnt vmcnt(8)
	v_mul_f32_e32 v10, v65, v68
	v_fma_f32 v96, v11, v79, -v4
	v_mul_f32_e32 v4, v66, v68
	v_fmac_f32_e32 v10, v66, v67
	v_fma_f32 v4, v65, v67, -v4
	v_mul_f32_e32 v87, v5, v10
	v_fmac_f32_e32 v87, v2, v4
	v_mul_f32_e32 v2, v2, v10
	v_fma_f32 v88, v5, v4, -v2
	v_mul_lo_u32 v5, v29, v0
	v_mul_u32_u24_e32 v49, 7, v0
	v_lshlrev_b32_e32 v77, 3, v49
	v_fmac_f32_e32 v91, v73, v78
	s_waitcnt vmcnt(6)
	v_mul_f32_e32 v4, v55, v70
	v_mul_f32_e32 v2, v56, v70
	v_fmac_f32_e32 v4, v56, v69
	v_fma_f32 v2, v55, v69, -v2
	v_mul_f32_e32 v89, v72, v4
	v_mul_f32_e32 v4, v52, v4
	v_fma_f32 v90, v72, v2, -v4
	v_fmac_f32_e32 v89, v52, v2
	s_waitcnt vmcnt(4)
	v_mul_f32_e32 v4, v57, v60
	v_mul_f32_e32 v2, v58, v60
	v_fmac_f32_e32 v4, v58, v59
	v_fma_f32 v2, v57, v59, -v2
	v_mul_f32_e32 v81, v54, v4
	v_mul_f32_e32 v4, v27, v4
	v_fma_f32 v82, v54, v2, -v4
	v_fmac_f32_e32 v81, v27, v2
	s_waitcnt vmcnt(2)
	v_mul_f32_e32 v4, v61, v64
	v_mul_f32_e32 v2, v62, v64
	v_fmac_f32_e32 v4, v62, v63
	v_fma_f32 v2, v61, v63, -v2
	v_mul_f32_e32 v83, v47, v4
	v_mul_f32_e32 v4, v48, v4
	v_fmac_f32_e32 v83, v48, v2
	v_fma_f32 v84, v47, v2, -v4
	s_waitcnt vmcnt(0)
	v_mul_f32_e32 v2, v7, v9
	v_fma_f32 v2, v6, v8, -v2
	v_mul_f32_e32 v4, v6, v9
	v_add_u32_e32 v6, 21, v0
	v_mul_lo_u32 v6, v29, v6
	v_fmac_f32_e32 v4, v7, v8
	v_mul_f32_e32 v79, v3, v4
	v_mul_f32_e32 v4, v53, v4
	v_fmac_f32_e32 v79, v53, v2
	v_fma_f32 v80, v3, v2, -v4
	v_lshlrev_b32_sdwa v2, v1, v5 dst_sel:DWORD dst_unused:UNUSED_PAD src0_sel:DWORD src1_sel:BYTE_0
	v_lshlrev_b32_sdwa v3, v1, v5 dst_sel:DWORD dst_unused:UNUSED_PAD src0_sel:DWORD src1_sel:BYTE_1
	v_lshlrev_b32_sdwa v4, v1, v6 dst_sel:DWORD dst_unused:UNUSED_PAD src0_sel:DWORD src1_sel:BYTE_0
	v_lshlrev_b32_sdwa v5, v1, v6 dst_sel:DWORD dst_unused:UNUSED_PAD src0_sel:DWORD src1_sel:BYTE_1
	v_add_u32_e32 v6, 42, v0
	v_add_u32_e32 v7, 63, v0
	v_mul_lo_u32 v6, v29, v6
	v_mul_lo_u32 v7, v29, v7
	global_load_dwordx2 v[53:54], v2, s[4:5]
	global_load_dwordx2 v[55:56], v3, s[4:5] offset:2048
	global_load_dwordx2 v[26:27], v4, s[4:5]
	global_load_dwordx2 v[47:48], v5, s[4:5] offset:2048
	v_lshlrev_b32_sdwa v2, v1, v6 dst_sel:DWORD dst_unused:UNUSED_PAD src0_sel:DWORD src1_sel:BYTE_0
	v_lshlrev_b32_sdwa v3, v1, v6 dst_sel:DWORD dst_unused:UNUSED_PAD src0_sel:DWORD src1_sel:BYTE_1
	v_lshlrev_b32_sdwa v4, v1, v7 dst_sel:DWORD dst_unused:UNUSED_PAD src0_sel:DWORD src1_sel:BYTE_0
	v_lshlrev_b32_sdwa v5, v1, v7 dst_sel:DWORD dst_unused:UNUSED_PAD src0_sel:DWORD src1_sel:BYTE_1
	v_add_u32_e32 v6, 0x54, v0
	v_add_u32_e32 v7, 0x69, v0
	v_mul_lo_u32 v6, v29, v6
	v_mul_lo_u32 v7, v29, v7
	global_load_dwordx2 v[57:58], v2, s[4:5]
	global_load_dwordx2 v[59:60], v3, s[4:5] offset:2048
	global_load_dwordx2 v[49:50], v4, s[4:5]
	global_load_dwordx2 v[51:52], v5, s[4:5] offset:2048
	v_add_u32_e32 v5, 0x7e, v0
	v_add_u32_e32 v0, 0x93, v0
	v_mul_lo_u32 v5, v29, v5
	v_mul_lo_u32 v0, v29, v0
	v_lshlrev_b32_sdwa v2, v1, v6 dst_sel:DWORD dst_unused:UNUSED_PAD src0_sel:DWORD src1_sel:BYTE_0
	v_lshlrev_b32_sdwa v3, v1, v6 dst_sel:DWORD dst_unused:UNUSED_PAD src0_sel:DWORD src1_sel:BYTE_1
	v_lshlrev_b32_sdwa v4, v1, v7 dst_sel:DWORD dst_unused:UNUSED_PAD src0_sel:DWORD src1_sel:BYTE_0
	v_lshlrev_b32_sdwa v78, v1, v7 dst_sel:DWORD dst_unused:UNUSED_PAD src0_sel:DWORD src1_sel:BYTE_1
	global_load_dwordx2 v[61:62], v2, s[4:5]
	global_load_dwordx2 v[65:66], v3, s[4:5] offset:2048
	v_lshlrev_b32_sdwa v111, v1, v5 dst_sel:DWORD dst_unused:UNUSED_PAD src0_sel:DWORD src1_sel:BYTE_0
	v_lshlrev_b32_sdwa v112, v1, v5 dst_sel:DWORD dst_unused:UNUSED_PAD src0_sel:DWORD src1_sel:BYTE_1
	v_lshlrev_b32_sdwa v113, v1, v0 dst_sel:DWORD dst_unused:UNUSED_PAD src0_sel:DWORD src1_sel:BYTE_0
	v_lshlrev_b32_sdwa v114, v1, v0 dst_sel:DWORD dst_unused:UNUSED_PAD src0_sel:DWORD src1_sel:BYTE_1
	global_load_dwordx2 v[73:74], v4, s[4:5]
	global_load_dwordx2 v[75:76], v78, s[4:5] offset:2048
	global_load_dwordx2 v[69:70], v111, s[4:5]
	global_load_dwordx2 v[71:72], v112, s[4:5] offset:2048
	;; [unrolled: 2-line block ×3, first 2 shown]
	global_load_dwordx2 v[97:98], v77, s[18:19] offset:192
	global_load_dwordx4 v[0:3], v77, s[18:19] offset:176
	global_load_dwordx4 v[4:7], v77, s[18:19] offset:160
	global_load_dwordx4 v[8:11], v77, s[18:19] offset:144
	s_cbranch_vccnz .LBB0_14
; %bb.13:
	v_mad_u64_u32 v[77:78], s[0:1], s8, v101, 0
	v_mad_u64_u32 v[111:112], s[0:1], s12, v103, 0
	;; [unrolled: 1-line block ×3, first 2 shown]
	v_mov_b32_e32 v78, v112
	v_mad_u64_u32 v[114:115], s[0:1], s13, v103, v[78:79]
	s_lshl_b64 s[0:1], s[6:7], 3
	s_add_u32 s4, s14, s0
	s_addc_u32 s0, s15, s1
	v_mov_b32_e32 v78, v113
	v_mov_b32_e32 v112, v114
	;; [unrolled: 1-line block ×3, first 2 shown]
	v_mad_u64_u32 v[113:114], s[0:1], s12, v28, 0
	v_lshlrev_b64 v[77:78], 3, v[77:78]
	v_lshlrev_b64 v[111:112], 3, v[111:112]
	v_add_co_u32_e32 v77, vcc, s4, v77
	v_addc_co_u32_e32 v78, vcc, v115, v78, vcc
	v_mad_u64_u32 v[114:115], s[0:1], s13, v28, v[114:115]
	v_add_co_u32_e32 v111, vcc, v77, v111
	v_addc_co_u32_e32 v112, vcc, v78, v112, vcc
	global_store_dwordx2 v[111:112], v[16:17], off
	v_lshlrev_b64 v[111:112], 3, v[113:114]
	v_mad_u64_u32 v[113:114], s[0:1], s12, v105, 0
	v_add_co_u32_e32 v111, vcc, v77, v111
	v_mad_u64_u32 v[114:115], s[0:1], s13, v105, v[114:115]
	v_mad_u64_u32 v[115:116], s[0:1], s12, v106, 0
	v_addc_co_u32_e32 v112, vcc, v78, v112, vcc
	global_store_dwordx2 v[111:112], v[12:13], off
	v_lshlrev_b64 v[111:112], 3, v[113:114]
	v_mov_b32_e32 v113, v116
	v_mad_u64_u32 v[113:114], s[0:1], s13, v106, v[113:114]
	v_add_co_u32_e32 v111, vcc, v77, v111
	v_mov_b32_e32 v116, v113
	v_mad_u64_u32 v[113:114], s[0:1], s12, v107, 0
	v_addc_co_u32_e32 v112, vcc, v78, v112, vcc
	global_store_dwordx2 v[111:112], v[18:19], off
	v_lshlrev_b64 v[111:112], 3, v[115:116]
	v_mad_u64_u32 v[114:115], s[0:1], s13, v107, v[114:115]
	v_add_co_u32_e32 v111, vcc, v77, v111
	v_addc_co_u32_e32 v112, vcc, v78, v112, vcc
	global_store_dwordx2 v[111:112], v[14:15], off
	v_lshlrev_b64 v[111:112], 3, v[113:114]
	v_mad_u64_u32 v[115:116], s[0:1], s12, v108, 0
	v_add_co_u32_e32 v111, vcc, v77, v111
	v_addc_co_u32_e32 v112, vcc, v78, v112, vcc
	global_store_dwordx2 v[111:112], v[20:21], off
	v_mad_u64_u32 v[111:112], s[0:1], s12, v109, 0
	v_mov_b32_e32 v107, v116
	v_mad_u64_u32 v[107:108], s[0:1], s13, v108, v[107:108]
	v_mad_u64_u32 v[112:113], s[0:1], s13, v109, v[112:113]
	;; [unrolled: 1-line block ×3, first 2 shown]
	v_mov_b32_e32 v116, v107
	v_lshlrev_b64 v[107:108], 3, v[115:116]
	v_mov_b32_e32 v109, v114
	v_add_co_u32_e32 v107, vcc, v77, v107
	v_addc_co_u32_e32 v108, vcc, v78, v108, vcc
	v_mad_u64_u32 v[109:110], s[0:1], s13, v110, v[109:110]
	global_store_dwordx2 v[107:108], v[22:23], off
	v_lshlrev_b64 v[107:108], 3, v[111:112]
	v_mov_b32_e32 v114, v109
	v_add_co_u32_e32 v107, vcc, v77, v107
	v_addc_co_u32_e32 v108, vcc, v78, v108, vcc
	v_and_b32_e32 v109, 0xffff, v104
	global_store_dwordx2 v[107:108], v[24:25], off
	v_lshlrev_b64 v[107:108], 3, v[113:114]
	v_mad_u32_u24 v113, v109, s10, v102
	v_mad_u64_u32 v[109:110], s[0:1], s12, v113, 0
	v_add_u32_e32 v114, 21, v113
	v_add_co_u32_e32 v107, vcc, v77, v107
	v_mad_u64_u32 v[110:111], s[0:1], s13, v113, v[110:111]
	v_mad_u64_u32 v[111:112], s[0:1], s12, v114, 0
	v_addc_co_u32_e32 v108, vcc, v78, v108, vcc
	global_store_dwordx2 v[107:108], v[85:86], off
	v_lshlrev_b64 v[107:108], 3, v[109:110]
	v_mov_b32_e32 v109, v112
	v_mad_u64_u32 v[109:110], s[0:1], s13, v114, v[109:110]
	v_add_co_u32_e32 v107, vcc, v77, v107
	v_addc_co_u32_e32 v108, vcc, v78, v108, vcc
	v_mov_b32_e32 v112, v109
	global_store_dwordx2 v[107:108], v[91:92], off
	v_lshlrev_b64 v[107:108], 3, v[111:112]
	v_add_u32_e32 v111, 42, v113
	v_mad_u64_u32 v[109:110], s[0:1], s12, v111, 0
	v_add_u32_e32 v114, 63, v113
	v_add_co_u32_e32 v107, vcc, v77, v107
	v_mad_u64_u32 v[110:111], s[0:1], s13, v111, v[110:111]
	v_mad_u64_u32 v[111:112], s[0:1], s12, v114, 0
	v_addc_co_u32_e32 v108, vcc, v78, v108, vcc
	global_store_dwordx2 v[107:108], v[93:94], off
	v_lshlrev_b64 v[107:108], 3, v[109:110]
	v_mov_b32_e32 v109, v112
	v_mad_u64_u32 v[109:110], s[0:1], s13, v114, v[109:110]
	v_add_co_u32_e32 v107, vcc, v77, v107
	v_addc_co_u32_e32 v108, vcc, v78, v108, vcc
	v_mov_b32_e32 v112, v109
	global_store_dwordx2 v[107:108], v[95:96], off
	v_lshlrev_b64 v[107:108], 3, v[111:112]
	v_add_u32_e32 v111, 0x54, v113
	;; [unrolled: 16-line block ×3, first 2 shown]
	v_mad_u64_u32 v[109:110], s[0:1], s12, v111, 0
	v_add_u32_e32 v113, 0x93, v113
	v_add_co_u32_e32 v107, vcc, v77, v107
	v_mad_u64_u32 v[110:111], s[0:1], s13, v111, v[110:111]
	v_mad_u64_u32 v[111:112], s[0:1], s12, v113, 0
	v_addc_co_u32_e32 v108, vcc, v78, v108, vcc
	global_store_dwordx2 v[107:108], v[81:82], off
	v_lshlrev_b64 v[107:108], 3, v[109:110]
	v_mov_b32_e32 v109, v112
	v_mad_u64_u32 v[109:110], s[0:1], s13, v113, v[109:110]
	v_add_co_u32_e32 v107, vcc, v77, v107
	v_addc_co_u32_e32 v108, vcc, v78, v108, vcc
	v_mov_b32_e32 v112, v109
	global_store_dwordx2 v[107:108], v[83:84], off
	v_lshlrev_b64 v[107:108], 3, v[111:112]
	v_add_co_u32_e32 v107, vcc, v77, v107
	v_addc_co_u32_e32 v108, vcc, v78, v108, vcc
	s_and_b64 s[0:1], s[2:3], exec
	global_store_dwordx2 v[107:108], v[79:80], off
	s_cbranch_execz .LBB0_15
	s_branch .LBB0_18
.LBB0_14:
	s_mov_b64 s[0:1], 0
                                        ; implicit-def: $vgpr77_vgpr78
.LBB0_15:
	v_cmp_gt_u64_e32 vcc, s[16:17], v[29:30]
                                        ; implicit-def: $vgpr77_vgpr78
	s_and_saveexec_b64 s[4:5], vcc
	s_cbranch_execz .LBB0_17
; %bb.16:
	v_mad_u64_u32 v[29:30], s[10:11], s8, v101, 0
	v_mad_u64_u32 v[107:108], s[10:11], s12, v103, 0
	;; [unrolled: 1-line block ×3, first 2 shown]
	v_mov_b32_e32 v30, v108
	v_mad_u64_u32 v[108:109], s[8:9], s13, v103, v[30:31]
	s_lshl_b64 s[6:7], s[6:7], 3
	s_add_u32 s8, s14, s6
	v_mov_b32_e32 v30, v77
	s_addc_u32 s6, s15, s7
	v_lshlrev_b64 v[29:30], 3, v[29:30]
	v_mov_b32_e32 v78, s6
	v_mad_u64_u32 v[109:110], s[6:7], s12, v28, 0
	v_add_co_u32_e32 v77, vcc, s8, v29
	v_addc_co_u32_e32 v78, vcc, v78, v30, vcc
	v_lshlrev_b64 v[29:30], 3, v[107:108]
	v_mov_b32_e32 v101, v110
	v_mad_u64_u32 v[107:108], s[6:7], s13, v28, v[101:102]
	v_add_co_u32_e32 v28, vcc, v77, v29
	v_addc_co_u32_e32 v29, vcc, v78, v30, vcc
	global_store_dwordx2 v[28:29], v[16:17], off
	v_mad_u64_u32 v[28:29], s[6:7], s12, v105, 0
	v_mov_b32_e32 v110, v107
	v_lshlrev_b64 v[16:17], 3, v[109:110]
	v_mad_u64_u32 v[29:30], s[6:7], s13, v105, v[29:30]
	v_mad_u64_u32 v[107:108], s[6:7], s12, v106, 0
	v_add_co_u32_e32 v16, vcc, v77, v16
	v_addc_co_u32_e32 v17, vcc, v78, v17, vcc
	global_store_dwordx2 v[16:17], v[12:13], off
	v_lshlrev_b64 v[12:13], 3, v[28:29]
	v_mov_b32_e32 v16, v108
	v_mad_u64_u32 v[16:17], s[6:7], s13, v106, v[16:17]
	v_add_co_u32_e32 v12, vcc, v77, v12
	v_addc_co_u32_e32 v13, vcc, v78, v13, vcc
	global_store_dwordx2 v[12:13], v[18:19], off
	v_add_u32_e32 v18, 0x54, v103
	v_mov_b32_e32 v108, v16
	v_mad_u64_u32 v[16:17], s[6:7], s12, v18, 0
	v_add_u32_e32 v28, 0x69, v103
	v_lshlrev_b64 v[12:13], 3, v[107:108]
	v_mad_u64_u32 v[17:18], s[6:7], s13, v18, v[17:18]
	v_mad_u64_u32 v[18:19], s[6:7], s12, v28, 0
	v_add_co_u32_e32 v12, vcc, v77, v12
	v_addc_co_u32_e32 v13, vcc, v78, v13, vcc
	global_store_dwordx2 v[12:13], v[14:15], off
	v_mov_b32_e32 v14, v19
	v_mad_u64_u32 v[14:15], s[6:7], s13, v28, v[14:15]
	v_lshlrev_b64 v[12:13], 3, v[16:17]
	v_add_u32_e32 v16, 0x7e, v103
	v_mov_b32_e32 v19, v14
	v_mad_u64_u32 v[14:15], s[6:7], s12, v16, 0
	v_add_co_u32_e32 v12, vcc, v77, v12
	v_addc_co_u32_e32 v13, vcc, v78, v13, vcc
	global_store_dwordx2 v[12:13], v[20:21], off
	v_lshlrev_b64 v[12:13], 3, v[18:19]
	v_mad_u64_u32 v[15:16], s[6:7], s13, v16, v[15:16]
	v_add_u32_e32 v18, 0x93, v103
	v_mad_u64_u32 v[16:17], s[6:7], s12, v18, 0
	v_add_co_u32_e32 v12, vcc, v77, v12
	v_addc_co_u32_e32 v13, vcc, v78, v13, vcc
	global_store_dwordx2 v[12:13], v[22:23], off
	v_lshlrev_b64 v[12:13], 3, v[14:15]
	v_mov_b32_e32 v14, v17
	v_mad_u64_u32 v[14:15], s[6:7], s13, v18, v[14:15]
	s_movk_i32 s6, 0x93
	v_add_co_u32_e32 v12, vcc, v77, v12
	v_mov_b32_e32 v17, v14
	v_and_b32_e32 v14, 0xffff, v104
	v_mad_u32_u24 v18, v14, s6, v102
	v_mad_u64_u32 v[14:15], s[6:7], s12, v18, 0
	v_addc_co_u32_e32 v13, vcc, v78, v13, vcc
	global_store_dwordx2 v[12:13], v[24:25], off
	v_lshlrev_b64 v[12:13], 3, v[16:17]
	v_mad_u64_u32 v[15:16], s[6:7], s13, v18, v[15:16]
	v_add_u32_e32 v19, 21, v18
	v_mad_u64_u32 v[16:17], s[6:7], s12, v19, 0
	v_add_co_u32_e32 v12, vcc, v77, v12
	v_addc_co_u32_e32 v13, vcc, v78, v13, vcc
	global_store_dwordx2 v[12:13], v[85:86], off
	v_lshlrev_b64 v[12:13], 3, v[14:15]
	v_mov_b32_e32 v14, v17
	v_mad_u64_u32 v[14:15], s[6:7], s13, v19, v[14:15]
	v_add_co_u32_e32 v12, vcc, v77, v12
	v_addc_co_u32_e32 v13, vcc, v78, v13, vcc
	v_mov_b32_e32 v17, v14
	global_store_dwordx2 v[12:13], v[91:92], off
	v_lshlrev_b64 v[12:13], 3, v[16:17]
	v_add_u32_e32 v16, 42, v18
	v_mad_u64_u32 v[14:15], s[6:7], s12, v16, 0
	v_add_u32_e32 v19, 63, v18
	v_add_co_u32_e32 v12, vcc, v77, v12
	v_mad_u64_u32 v[15:16], s[6:7], s13, v16, v[15:16]
	v_mad_u64_u32 v[16:17], s[6:7], s12, v19, 0
	v_addc_co_u32_e32 v13, vcc, v78, v13, vcc
	global_store_dwordx2 v[12:13], v[93:94], off
	v_lshlrev_b64 v[12:13], 3, v[14:15]
	v_mov_b32_e32 v14, v17
	v_mad_u64_u32 v[14:15], s[6:7], s13, v19, v[14:15]
	v_add_co_u32_e32 v12, vcc, v77, v12
	v_addc_co_u32_e32 v13, vcc, v78, v13, vcc
	v_mov_b32_e32 v17, v14
	global_store_dwordx2 v[12:13], v[95:96], off
	v_lshlrev_b64 v[12:13], 3, v[16:17]
	v_add_u32_e32 v16, 0x54, v18
	v_mad_u64_u32 v[14:15], s[6:7], s12, v16, 0
	v_add_u32_e32 v19, 0x69, v18
	v_add_co_u32_e32 v12, vcc, v77, v12
	v_mad_u64_u32 v[15:16], s[6:7], s13, v16, v[15:16]
	v_mad_u64_u32 v[16:17], s[6:7], s12, v19, 0
	v_addc_co_u32_e32 v13, vcc, v78, v13, vcc
	global_store_dwordx2 v[12:13], v[87:88], off
	v_lshlrev_b64 v[12:13], 3, v[14:15]
	v_mov_b32_e32 v14, v17
	v_mad_u64_u32 v[14:15], s[6:7], s13, v19, v[14:15]
	v_add_co_u32_e32 v12, vcc, v77, v12
	v_addc_co_u32_e32 v13, vcc, v78, v13, vcc
	v_mov_b32_e32 v17, v14
	global_store_dwordx2 v[12:13], v[89:90], off
	v_lshlrev_b64 v[12:13], 3, v[16:17]
	v_add_u32_e32 v16, 0x7e, v18
	v_mad_u64_u32 v[14:15], s[6:7], s12, v16, 0
	v_add_u32_e32 v18, 0x93, v18
	v_add_co_u32_e32 v12, vcc, v77, v12
	v_mad_u64_u32 v[15:16], s[6:7], s13, v16, v[15:16]
	v_mad_u64_u32 v[16:17], s[6:7], s12, v18, 0
	v_addc_co_u32_e32 v13, vcc, v78, v13, vcc
	global_store_dwordx2 v[12:13], v[81:82], off
	v_lshlrev_b64 v[12:13], 3, v[14:15]
	v_mov_b32_e32 v14, v17
	v_mad_u64_u32 v[14:15], s[6:7], s13, v18, v[14:15]
	v_add_co_u32_e32 v12, vcc, v77, v12
	v_addc_co_u32_e32 v13, vcc, v78, v13, vcc
	v_mov_b32_e32 v17, v14
	global_store_dwordx2 v[12:13], v[83:84], off
	v_lshlrev_b64 v[12:13], 3, v[16:17]
	s_andn2_b64 s[0:1], s[0:1], exec
	v_add_co_u32_e32 v12, vcc, v77, v12
	s_and_b64 s[2:3], s[2:3], exec
	v_addc_co_u32_e32 v13, vcc, v78, v13, vcc
	s_or_b64 s[0:1], s[0:1], s[2:3]
	global_store_dwordx2 v[12:13], v[79:80], off
.LBB0_17:
	s_or_b64 exec, exec, s[4:5]
.LBB0_18:
	s_and_saveexec_b64 s[2:3], s[0:1]
	s_cbranch_execnz .LBB0_20
; %bb.19:
	s_endpgm
.LBB0_20:
	s_waitcnt vmcnt(0)
	v_mul_f32_e32 v12, v36, v9
	v_mul_f32_e32 v9, v35, v9
	v_fmac_f32_e32 v12, v35, v8
	v_fma_f32 v8, v36, v8, -v9
	v_mul_f32_e32 v9, v34, v11
	v_mul_f32_e32 v11, v33, v11
	v_fmac_f32_e32 v9, v33, v10
	v_fma_f32 v10, v34, v10, -v11
	;; [unrolled: 4-line block ×7, first 2 shown]
	v_sub_f32_e32 v5, v31, v5
	v_sub_f32_e32 v6, v32, v6
	;; [unrolled: 1-line block ×8, first 2 shown]
	v_fma_f32 v14, v31, 2.0, -v5
	v_fma_f32 v15, v32, 2.0, -v6
	;; [unrolled: 1-line block ×8, first 2 shown]
	v_sub_f32_e32 v9, v14, v9
	v_sub_f32_e32 v10, v15, v10
	v_add_f32_e32 v2, v5, v2
	v_sub_f32_e32 v1, v6, v1
	v_sub_f32_e32 v11, v12, v11
	;; [unrolled: 1-line block ×3, first 2 shown]
	v_fma_f32 v14, v14, 2.0, -v9
	v_fma_f32 v15, v15, 2.0, -v10
	;; [unrolled: 1-line block ×5, first 2 shown]
	v_add_f32_e32 v13, v7, v13
	v_sub_f32_e32 v3, v0, v3
	v_mov_b32_e32 v20, v2
	v_fma_f32 v5, v5, 2.0, -v2
	v_fma_f32 v0, v0, 2.0, -v3
	v_sub_f32_e32 v12, v14, v12
	v_sub_f32_e32 v16, v15, v8
	v_mov_b32_e32 v17, v6
	v_fmac_f32_e32 v20, 0x3f3504f3, v13
	v_fma_f32 v7, v7, 2.0, -v13
	v_fma_f32 v8, v14, 2.0, -v12
	;; [unrolled: 1-line block ×3, first 2 shown]
	v_mov_b32_e32 v15, v5
	v_fmac_f32_e32 v17, 0xbf3504f3, v0
	v_add_f32_e32 v18, v9, v4
	v_sub_f32_e32 v19, v10, v11
	v_mov_b32_e32 v21, v1
	v_fmac_f32_e32 v20, 0x3f3504f3, v3
	v_fmac_f32_e32 v15, 0xbf3504f3, v7
	;; [unrolled: 1-line block ×3, first 2 shown]
	v_fma_f32 v7, v9, 2.0, -v18
	v_fma_f32 v9, v10, 2.0, -v19
	v_fmac_f32_e32 v21, 0x3f3504f3, v3
	v_fma_f32 v10, v2, 2.0, -v20
	v_mul_f32_e32 v2, v53, v56
	v_fmac_f32_e32 v15, 0x3f3504f3, v0
	v_fmac_f32_e32 v21, 0xbf3504f3, v13
	v_mul_f32_e32 v0, v54, v56
	v_fmac_f32_e32 v2, v54, v55
	v_fma_f32 v11, v1, 2.0, -v21
	v_fma_f32 v1, v53, v55, -v0
	v_mul_f32_e32 v0, v14, v2
	v_mul_f32_e32 v2, v8, v2
	;; [unrolled: 1-line block ×3, first 2 shown]
	v_fma_f32 v5, v5, 2.0, -v15
	v_fma_f32 v6, v6, 2.0, -v17
	v_fmac_f32_e32 v0, v8, v1
	v_fma_f32 v1, v14, v1, -v2
	v_mul_f32_e32 v2, v27, v48
	v_fmac_f32_e32 v4, v27, v47
	v_fma_f32 v3, v26, v47, -v2
	v_mul_f32_e32 v2, v6, v4
	v_mul_f32_e32 v4, v5, v4
	v_fmac_f32_e32 v2, v5, v3
	v_fma_f32 v3, v6, v3, -v4
	v_mul_f32_e32 v6, v57, v60
	;; [unrolled: 4-line block ×3, first 2 shown]
	v_mul_f32_e32 v6, v7, v6
	v_mul_f32_e32 v8, v49, v52
	v_fmac_f32_e32 v4, v7, v5
	v_fma_f32 v5, v9, v5, -v6
	v_mul_f32_e32 v6, v50, v52
	v_fmac_f32_e32 v8, v50, v51
	v_fma_f32 v7, v49, v51, -v6
	v_mul_f32_e32 v6, v11, v8
	v_fmac_f32_e32 v6, v10, v7
	v_mul_f32_e32 v8, v10, v8
	v_mul_f32_e32 v10, v61, v66
	v_fma_f32 v7, v11, v7, -v8
	v_mul_f32_e32 v8, v62, v66
	v_fmac_f32_e32 v10, v62, v65
	v_fma_f32 v9, v61, v65, -v8
	v_mul_f32_e32 v8, v16, v10
	v_fmac_f32_e32 v8, v12, v9
	v_mul_f32_e32 v10, v12, v10
	v_mul_f32_e32 v12, v73, v76
	v_fma_f32 v9, v16, v9, -v10
	v_mul_f32_e32 v10, v74, v76
	v_fmac_f32_e32 v12, v74, v75
	v_fma_f32 v11, v73, v75, -v10
	v_mul_f32_e32 v10, v17, v12
	v_mul_f32_e32 v12, v15, v12
	;; [unrolled: 1-line block ×3, first 2 shown]
	v_fmac_f32_e32 v10, v15, v11
	v_fma_f32 v11, v17, v11, -v12
	v_mul_f32_e32 v12, v70, v72
	v_fmac_f32_e32 v14, v70, v71
	v_fma_f32 v13, v69, v71, -v12
	v_mul_f32_e32 v12, v19, v14
	v_mul_f32_e32 v14, v18, v14
	v_fmac_f32_e32 v12, v18, v13
	v_fma_f32 v13, v19, v13, -v14
	v_mul_f32_e32 v14, v64, v68
	v_fma_f32 v17, v63, v67, -v14
	v_mul_f32_e32 v18, v63, v68
	v_mad_u64_u32 v[14:15], s[0:1], s12, v100, 0
	v_fmac_f32_e32 v18, v64, v67
	v_mul_f32_e32 v16, v21, v18
	v_fmac_f32_e32 v16, v20, v17
	v_mul_f32_e32 v22, v20, v18
	v_mad_u64_u32 v[18:19], s[0:1], s13, v100, v[15:16]
	v_add_u32_e32 v23, 37, v99
	v_mad_u64_u32 v[19:20], s[0:1], s12, v23, 0
	v_mov_b32_e32 v15, v18
	v_lshlrev_b64 v[14:15], 3, v[14:15]
	v_mov_b32_e32 v18, v20
	v_add_co_u32_e32 v14, vcc, v77, v14
	v_fma_f32 v17, v21, v17, -v22
	v_mad_u64_u32 v[20:21], s[0:1], s13, v23, v[18:19]
	v_addc_co_u32_e32 v15, vcc, v78, v15, vcc
	v_add_u32_e32 v18, 58, v99
	global_store_dwordx2 v[14:15], v[0:1], off
	v_mad_u64_u32 v[14:15], s[0:1], s12, v18, 0
	v_lshlrev_b64 v[0:1], 3, v[19:20]
	v_add_u32_e32 v21, 0x4f, v99
	v_mad_u64_u32 v[18:19], s[0:1], s13, v18, v[15:16]
	v_mad_u64_u32 v[19:20], s[0:1], s12, v21, 0
	v_add_co_u32_e32 v0, vcc, v77, v0
	v_addc_co_u32_e32 v1, vcc, v78, v1, vcc
	v_mov_b32_e32 v15, v18
	global_store_dwordx2 v[0:1], v[2:3], off
	v_lshlrev_b64 v[0:1], 3, v[14:15]
	v_mov_b32_e32 v2, v20
	v_mad_u64_u32 v[2:3], s[0:1], s13, v21, v[2:3]
	v_add_co_u32_e32 v0, vcc, v77, v0
	v_addc_co_u32_e32 v1, vcc, v78, v1, vcc
	global_store_dwordx2 v[0:1], v[4:5], off
	v_add_u32_e32 v4, 0x64, v99
	v_mov_b32_e32 v20, v2
	v_mad_u64_u32 v[2:3], s[0:1], s12, v4, 0
	v_add_u32_e32 v14, 0x79, v99
	v_lshlrev_b64 v[0:1], 3, v[19:20]
	v_mad_u64_u32 v[3:4], s[0:1], s13, v4, v[3:4]
	v_mad_u64_u32 v[4:5], s[0:1], s12, v14, 0
	v_add_co_u32_e32 v0, vcc, v77, v0
	v_addc_co_u32_e32 v1, vcc, v78, v1, vcc
	global_store_dwordx2 v[0:1], v[6:7], off
	v_lshlrev_b64 v[0:1], 3, v[2:3]
	v_mov_b32_e32 v2, v5
	v_mad_u64_u32 v[2:3], s[0:1], s13, v14, v[2:3]
	v_add_co_u32_e32 v0, vcc, v77, v0
	v_addc_co_u32_e32 v1, vcc, v78, v1, vcc
	v_mov_b32_e32 v5, v2
	global_store_dwordx2 v[0:1], v[8:9], off
	v_lshlrev_b64 v[0:1], 3, v[4:5]
	v_add_u32_e32 v4, 0x8e, v99
	v_mad_u64_u32 v[2:3], s[0:1], s12, v4, 0
	v_add_u32_e32 v6, 0xa3, v99
	v_add_co_u32_e32 v0, vcc, v77, v0
	v_mad_u64_u32 v[3:4], s[0:1], s13, v4, v[3:4]
	v_mad_u64_u32 v[4:5], s[0:1], s12, v6, 0
	v_addc_co_u32_e32 v1, vcc, v78, v1, vcc
	global_store_dwordx2 v[0:1], v[10:11], off
	v_lshlrev_b64 v[0:1], 3, v[2:3]
	v_mov_b32_e32 v2, v5
	v_mad_u64_u32 v[2:3], s[0:1], s13, v6, v[2:3]
	v_add_co_u32_e32 v0, vcc, v77, v0
	v_addc_co_u32_e32 v1, vcc, v78, v1, vcc
	v_mov_b32_e32 v5, v2
	global_store_dwordx2 v[0:1], v[12:13], off
	v_lshlrev_b64 v[0:1], 3, v[4:5]
	v_add_co_u32_e32 v0, vcc, v77, v0
	v_addc_co_u32_e32 v1, vcc, v78, v1, vcc
	global_store_dwordx2 v[0:1], v[16:17], off
	s_endpgm
	.section	.rodata,"a",@progbits
	.p2align	6, 0x0
	.amdhsa_kernel fft_rtc_back_len168_factors_3_7_8_wgs_192_tpt_8_dim2_sp_ip_CI_sbcc_twdbase8_2step_dirReg
		.amdhsa_group_segment_fixed_size 0
		.amdhsa_private_segment_fixed_size 0
		.amdhsa_kernarg_size 88
		.amdhsa_user_sgpr_count 6
		.amdhsa_user_sgpr_private_segment_buffer 1
		.amdhsa_user_sgpr_dispatch_ptr 0
		.amdhsa_user_sgpr_queue_ptr 0
		.amdhsa_user_sgpr_kernarg_segment_ptr 1
		.amdhsa_user_sgpr_dispatch_id 0
		.amdhsa_user_sgpr_flat_scratch_init 0
		.amdhsa_user_sgpr_private_segment_size 0
		.amdhsa_uses_dynamic_stack 0
		.amdhsa_system_sgpr_private_segment_wavefront_offset 0
		.amdhsa_system_sgpr_workgroup_id_x 1
		.amdhsa_system_sgpr_workgroup_id_y 0
		.amdhsa_system_sgpr_workgroup_id_z 0
		.amdhsa_system_sgpr_workgroup_info 0
		.amdhsa_system_vgpr_workitem_id 0
		.amdhsa_next_free_vgpr 117
		.amdhsa_next_free_sgpr 24
		.amdhsa_reserve_vcc 1
		.amdhsa_reserve_flat_scratch 0
		.amdhsa_float_round_mode_32 0
		.amdhsa_float_round_mode_16_64 0
		.amdhsa_float_denorm_mode_32 3
		.amdhsa_float_denorm_mode_16_64 3
		.amdhsa_dx10_clamp 1
		.amdhsa_ieee_mode 1
		.amdhsa_fp16_overflow 0
		.amdhsa_exception_fp_ieee_invalid_op 0
		.amdhsa_exception_fp_denorm_src 0
		.amdhsa_exception_fp_ieee_div_zero 0
		.amdhsa_exception_fp_ieee_overflow 0
		.amdhsa_exception_fp_ieee_underflow 0
		.amdhsa_exception_fp_ieee_inexact 0
		.amdhsa_exception_int_div_zero 0
	.end_amdhsa_kernel
	.text
.Lfunc_end0:
	.size	fft_rtc_back_len168_factors_3_7_8_wgs_192_tpt_8_dim2_sp_ip_CI_sbcc_twdbase8_2step_dirReg, .Lfunc_end0-fft_rtc_back_len168_factors_3_7_8_wgs_192_tpt_8_dim2_sp_ip_CI_sbcc_twdbase8_2step_dirReg
                                        ; -- End function
	.section	.AMDGPU.csdata,"",@progbits
; Kernel info:
; codeLenInByte = 12492
; NumSgprs: 28
; NumVgprs: 117
; ScratchSize: 0
; MemoryBound: 0
; FloatMode: 240
; IeeeMode: 1
; LDSByteSize: 0 bytes/workgroup (compile time only)
; SGPRBlocks: 3
; VGPRBlocks: 29
; NumSGPRsForWavesPerEU: 28
; NumVGPRsForWavesPerEU: 117
; Occupancy: 2
; WaveLimiterHint : 1
; COMPUTE_PGM_RSRC2:SCRATCH_EN: 0
; COMPUTE_PGM_RSRC2:USER_SGPR: 6
; COMPUTE_PGM_RSRC2:TRAP_HANDLER: 0
; COMPUTE_PGM_RSRC2:TGID_X_EN: 1
; COMPUTE_PGM_RSRC2:TGID_Y_EN: 0
; COMPUTE_PGM_RSRC2:TGID_Z_EN: 0
; COMPUTE_PGM_RSRC2:TIDIG_COMP_CNT: 0
	.type	__hip_cuid_d614b2a22d67dd0d,@object ; @__hip_cuid_d614b2a22d67dd0d
	.section	.bss,"aw",@nobits
	.globl	__hip_cuid_d614b2a22d67dd0d
__hip_cuid_d614b2a22d67dd0d:
	.byte	0                               ; 0x0
	.size	__hip_cuid_d614b2a22d67dd0d, 1

	.ident	"AMD clang version 19.0.0git (https://github.com/RadeonOpenCompute/llvm-project roc-6.4.0 25133 c7fe45cf4b819c5991fe208aaa96edf142730f1d)"
	.section	".note.GNU-stack","",@progbits
	.addrsig
	.addrsig_sym __hip_cuid_d614b2a22d67dd0d
	.amdgpu_metadata
---
amdhsa.kernels:
  - .args:
      - .actual_access:  read_only
        .address_space:  global
        .offset:         0
        .size:           8
        .value_kind:     global_buffer
      - .address_space:  global
        .offset:         8
        .size:           8
        .value_kind:     global_buffer
      - .actual_access:  read_only
        .address_space:  global
        .offset:         16
        .size:           8
        .value_kind:     global_buffer
      - .actual_access:  read_only
        .address_space:  global
        .offset:         24
        .size:           8
        .value_kind:     global_buffer
      - .offset:         32
        .size:           8
        .value_kind:     by_value
      - .actual_access:  read_only
        .address_space:  global
        .offset:         40
        .size:           8
        .value_kind:     global_buffer
      - .actual_access:  read_only
        .address_space:  global
        .offset:         48
        .size:           8
        .value_kind:     global_buffer
      - .offset:         56
        .size:           4
        .value_kind:     by_value
      - .actual_access:  read_only
        .address_space:  global
        .offset:         64
        .size:           8
        .value_kind:     global_buffer
      - .actual_access:  read_only
        .address_space:  global
        .offset:         72
        .size:           8
        .value_kind:     global_buffer
      - .address_space:  global
        .offset:         80
        .size:           8
        .value_kind:     global_buffer
    .group_segment_fixed_size: 0
    .kernarg_segment_align: 8
    .kernarg_segment_size: 88
    .language:       OpenCL C
    .language_version:
      - 2
      - 0
    .max_flat_workgroup_size: 192
    .name:           fft_rtc_back_len168_factors_3_7_8_wgs_192_tpt_8_dim2_sp_ip_CI_sbcc_twdbase8_2step_dirReg
    .private_segment_fixed_size: 0
    .sgpr_count:     28
    .sgpr_spill_count: 0
    .symbol:         fft_rtc_back_len168_factors_3_7_8_wgs_192_tpt_8_dim2_sp_ip_CI_sbcc_twdbase8_2step_dirReg.kd
    .uniform_work_group_size: 1
    .uses_dynamic_stack: false
    .vgpr_count:     117
    .vgpr_spill_count: 0
    .wavefront_size: 64
amdhsa.target:   amdgcn-amd-amdhsa--gfx906
amdhsa.version:
  - 1
  - 2
...

	.end_amdgpu_metadata
